;; amdgpu-corpus repo=ROCm/rocFFT kind=compiled arch=gfx1201 opt=O3
	.text
	.amdgcn_target "amdgcn-amd-amdhsa--gfx1201"
	.amdhsa_code_object_version 6
	.protected	bluestein_single_fwd_len1859_dim1_half_op_CI_CI ; -- Begin function bluestein_single_fwd_len1859_dim1_half_op_CI_CI
	.globl	bluestein_single_fwd_len1859_dim1_half_op_CI_CI
	.p2align	8
	.type	bluestein_single_fwd_len1859_dim1_half_op_CI_CI,@function
bluestein_single_fwd_len1859_dim1_half_op_CI_CI: ; @bluestein_single_fwd_len1859_dim1_half_op_CI_CI
; %bb.0:
	s_load_b128 s[8:11], s[0:1], 0x28
	v_mul_u32_u24_e32 v1, 0x184, v0
	s_mov_b32 s2, exec_lo
	v_mov_b32_e32 v21, 0
	s_delay_alu instid0(VALU_DEP_2) | instskip(NEXT) | instid1(VALU_DEP_1)
	v_lshrrev_b32_e32 v1, 16, v1
	v_add_nc_u32_e32 v20, ttmp9, v1
	s_wait_kmcnt 0x0
	s_delay_alu instid0(VALU_DEP_1)
	v_cmpx_gt_u64_e64 s[8:9], v[20:21]
	s_cbranch_execz .LBB0_23
; %bb.1:
	s_clause 0x1
	s_load_b64 s[20:21], s[0:1], 0x0
	s_load_b64 s[8:9], s[0:1], 0x38
	v_mul_lo_u16 v1, 0xa9, v1
	s_delay_alu instid0(VALU_DEP_1) | instskip(NEXT) | instid1(VALU_DEP_1)
	v_sub_nc_u16 v0, v0, v1
	v_and_b32_e32 v37, 0xffff, v0
	v_cmp_gt_u16_e32 vcc_lo, 0x8f, v0
	s_delay_alu instid0(VALU_DEP_2)
	v_lshlrev_b32_e32 v36, 2, v37
	s_and_saveexec_b32 s3, vcc_lo
	s_cbranch_execz .LBB0_3
; %bb.2:
	s_load_b64 s[4:5], s[0:1], 0x18
	s_delay_alu instid0(VALU_DEP_1)
	v_add_nc_u32_e32 v29, 0xc00, v36
	s_wait_kmcnt 0x0
	s_load_b128 s[4:7], s[4:5], 0x0
	s_wait_kmcnt 0x0
	v_mad_co_u64_u32 v[0:1], null, s6, v20, 0
	v_mad_co_u64_u32 v[2:3], null, s4, v37, 0
	s_delay_alu instid0(VALU_DEP_1) | instskip(NEXT) | instid1(VALU_DEP_1)
	v_mad_co_u64_u32 v[4:5], null, s7, v20, v[1:2]
	v_mad_co_u64_u32 v[5:6], null, s5, v37, v[3:4]
	v_mov_b32_e32 v1, v4
	s_mul_u64 s[4:5], s[4:5], 0x23c
	s_delay_alu instid0(VALU_DEP_1) | instskip(NEXT) | instid1(VALU_DEP_3)
	v_lshlrev_b64_e32 v[0:1], 2, v[0:1]
	v_mov_b32_e32 v3, v5
	s_clause 0x7
	global_load_b32 v4, v36, s[20:21]
	global_load_b32 v5, v36, s[20:21] offset:572
	global_load_b32 v6, v36, s[20:21] offset:1144
	;; [unrolled: 1-line block ×7, first 2 shown]
	v_add_co_u32 v0, s2, s10, v0
	v_lshlrev_b64_e32 v[2:3], 2, v[2:3]
	v_add_co_ci_u32_e64 v1, s2, s11, v1, s2
	s_delay_alu instid0(VALU_DEP_2) | instskip(SKIP_1) | instid1(VALU_DEP_2)
	v_add_co_u32 v0, s2, v0, v2
	s_wait_alu 0xf1ff
	v_add_co_ci_u32_e64 v1, s2, v1, v3, s2
	global_load_b32 v12, v[0:1], off
	s_wait_alu 0xfffe
	v_add_co_u32 v0, s2, v0, s4
	s_wait_alu 0xf1ff
	v_add_co_ci_u32_e64 v1, s2, s5, v1, s2
	s_clause 0x3
	global_load_b32 v13, v36, s[20:21] offset:4576
	global_load_b32 v14, v36, s[20:21] offset:5148
	;; [unrolled: 1-line block ×4, first 2 shown]
	global_load_b32 v17, v[0:1], off
	v_add_co_u32 v0, s2, v0, s4
	s_wait_alu 0xf1ff
	v_add_co_ci_u32_e64 v1, s2, s5, v1, s2
	global_load_b32 v18, v36, s[20:21] offset:6864
	v_add_co_u32 v2, s2, v0, s4
	s_wait_alu 0xf1ff
	v_add_co_ci_u32_e64 v3, s2, s5, v1, s2
	global_load_b32 v19, v[0:1], off
	v_add_co_u32 v0, s2, v2, s4
	s_wait_alu 0xf1ff
	v_add_co_ci_u32_e64 v1, s2, s5, v3, s2
	s_clause 0x1
	global_load_b32 v21, v[2:3], off
	global_load_b32 v22, v[0:1], off
	v_add_co_u32 v0, s2, v0, s4
	s_wait_alu 0xf1ff
	v_add_co_ci_u32_e64 v1, s2, s5, v1, s2
	s_delay_alu instid0(VALU_DEP_2) | instskip(SKIP_1) | instid1(VALU_DEP_2)
	v_add_co_u32 v2, s2, v0, s4
	s_wait_alu 0xf1ff
	v_add_co_ci_u32_e64 v3, s2, s5, v1, s2
	global_load_b32 v23, v[0:1], off
	v_add_co_u32 v0, s2, v2, s4
	s_wait_alu 0xf1ff
	v_add_co_ci_u32_e64 v1, s2, s5, v3, s2
	global_load_b32 v24, v[2:3], off
	global_load_b32 v25, v[0:1], off
	v_add_co_u32 v0, s2, v0, s4
	s_wait_alu 0xf1ff
	v_add_co_ci_u32_e64 v1, s2, s5, v1, s2
	s_delay_alu instid0(VALU_DEP_2) | instskip(SKIP_1) | instid1(VALU_DEP_2)
	v_add_co_u32 v2, s2, v0, s4
	s_wait_alu 0xf1ff
	v_add_co_ci_u32_e64 v3, s2, s5, v1, s2
	global_load_b32 v26, v[0:1], off
	v_add_co_u32 v0, s2, v2, s4
	s_wait_alu 0xf1ff
	v_add_co_ci_u32_e64 v1, s2, s5, v3, s2
	global_load_b32 v27, v[2:3], off
	;; [unrolled: 4-line block ×4, first 2 shown]
	global_load_b32 v0, v[0:1], off
	v_add_nc_u32_e32 v1, 0x400, v36
	v_add_nc_u32_e32 v3, 0x800, v36
	s_wait_loadcnt 0x19
	v_lshrrev_b32_e32 v30, 16, v4
	s_wait_loadcnt 0x18
	v_lshrrev_b32_e32 v31, 16, v5
	;; [unrolled: 2-line block ×9, first 2 shown]
	v_mul_f16_e32 v45, v30, v12
	s_wait_loadcnt 0x10
	v_lshrrev_b32_e32 v40, 16, v13
	s_wait_loadcnt 0xf
	v_lshrrev_b32_e32 v42, 16, v14
	;; [unrolled: 2-line block ×3, first 2 shown]
	v_mul_f16_e32 v30, v30, v41
	s_wait_loadcnt 0xc
	v_lshrrev_b32_e32 v46, 16, v17
	v_mul_f16_e32 v48, v31, v17
	v_fma_f16 v41, v4, v41, -v45
	v_lshrrev_b32_e32 v44, 16, v16
	v_fmac_f16_e32 v30, v4, v12
	v_mul_f16_e32 v4, v31, v46
	v_fma_f16 v31, v5, v46, -v48
	s_wait_loadcnt 0xb
	v_lshrrev_b32_e32 v47, 16, v18
	s_wait_loadcnt 0xa
	v_lshrrev_b32_e32 v12, 16, v19
	v_mul_f16_e32 v45, v32, v19
	v_fmac_f16_e32 v4, v5, v17
	v_pack_b32_f16 v30, v30, v41
	s_delay_alu instid0(VALU_DEP_4)
	v_mul_f16_e32 v5, v32, v12
	s_wait_loadcnt 0x9
	v_lshrrev_b32_e32 v17, 16, v21
	v_mul_f16_e32 v32, v33, v21
	v_fma_f16 v12, v6, v12, -v45
	v_pack_b32_f16 v4, v4, v31
	v_fmac_f16_e32 v5, v6, v19
	v_mul_f16_e32 v6, v33, v17
	s_wait_loadcnt 0x8
	v_lshrrev_b32_e32 v19, 16, v22
	v_fma_f16 v17, v7, v17, -v32
	v_mul_f16_e32 v31, v34, v22
	ds_store_2addr_b32 v36, v30, v4 offset1:143
	v_pack_b32_f16 v4, v5, v12
	v_fmac_f16_e32 v6, v7, v21
	v_mul_f16_e32 v5, v34, v19
	s_wait_loadcnt 0x7
	v_lshrrev_b32_e32 v7, 16, v23
	v_mul_f16_e32 v12, v35, v23
	v_fma_f16 v19, v8, v19, -v31
	v_pack_b32_f16 v6, v6, v17
	v_fmac_f16_e32 v5, v8, v22
	v_mul_f16_e32 v8, v35, v7
	v_fma_f16 v7, v9, v7, -v12
	s_wait_loadcnt 0x6
	v_lshrrev_b32_e32 v12, 16, v24
	ds_store_2addr_b32 v1, v4, v6 offset0:30 offset1:173
	v_pack_b32_f16 v1, v5, v19
	v_fmac_f16_e32 v8, v9, v23
	s_wait_loadcnt 0x5
	v_lshrrev_b32_e32 v5, 16, v25
	v_mul_f16_e32 v17, v38, v24
	v_mul_f16_e32 v4, v38, v12
	;; [unrolled: 1-line block ×3, first 2 shown]
	v_pack_b32_f16 v7, v8, v7
	v_mul_f16_e32 v8, v39, v5
	v_fma_f16 v6, v10, v12, -v17
	v_fmac_f16_e32 v4, v10, v24
	s_wait_loadcnt 0x4
	v_lshrrev_b32_e32 v10, 16, v26
	v_fma_f16 v5, v11, v5, -v9
	v_mul_f16_e32 v9, v40, v26
	v_fmac_f16_e32 v8, v11, v25
	s_wait_loadcnt 0x3
	v_lshrrev_b32_e32 v11, 16, v27
	v_pack_b32_f16 v4, v4, v6
	v_mul_f16_e32 v6, v40, v10
	v_fma_f16 v9, v13, v10, -v9
	v_mul_f16_e32 v10, v42, v27
	v_pack_b32_f16 v5, v8, v5
	v_mul_f16_e32 v8, v42, v11
	v_fmac_f16_e32 v6, v13, v26
	s_wait_loadcnt 0x2
	v_lshrrev_b32_e32 v12, 16, v28
	v_fma_f16 v10, v14, v11, -v10
	v_mul_f16_e32 v11, v43, v28
	v_fmac_f16_e32 v8, v14, v27
	s_wait_loadcnt 0x1
	v_lshrrev_b32_e32 v13, 16, v2
	s_wait_loadcnt 0x0
	v_lshrrev_b32_e32 v14, 16, v0
	v_pack_b32_f16 v6, v6, v9
	v_mul_f16_e32 v9, v43, v12
	v_fma_f16 v11, v15, v12, -v11
	v_mul_f16_e32 v12, v44, v2
	v_pack_b32_f16 v8, v8, v10
	v_mul_f16_e32 v10, v44, v13
	v_mul_f16_e32 v17, v47, v14
	v_mul_f16_e32 v19, v47, v0
	v_fmac_f16_e32 v9, v15, v28
	v_fma_f16 v12, v16, v13, -v12
	v_fmac_f16_e32 v10, v16, v2
	v_add_nc_u32_e32 v2, 0x1100, v36
	v_fmac_f16_e32 v17, v18, v0
	v_fma_f16 v0, v18, v14, -v19
	v_pack_b32_f16 v9, v9, v11
	v_pack_b32_f16 v10, v10, v12
	v_add_nc_u32_e32 v11, 0x1600, v36
	s_delay_alu instid0(VALU_DEP_4)
	v_pack_b32_f16 v0, v17, v0
	ds_store_2addr_b32 v3, v1, v7 offset0:60 offset1:203
	ds_store_2addr_b32 v29, v4, v5 offset0:90 offset1:233
	;; [unrolled: 1-line block ×4, first 2 shown]
	ds_store_b32 v36, v0 offset:6864
.LBB0_3:
	s_or_b32 exec_lo, exec_lo, s3
	s_clause 0x1
	s_load_b64 s[2:3], s[0:1], 0x20
	s_load_b64 s[0:1], s[0:1], 0x8
	global_wb scope:SCOPE_SE
	s_wait_dscnt 0x0
	s_wait_kmcnt 0x0
	s_barrier_signal -1
	s_barrier_wait -1
	global_inv scope:SCOPE_SE
                                        ; implicit-def: $vgpr0
                                        ; implicit-def: $vgpr7
                                        ; implicit-def: $vgpr18
                                        ; implicit-def: $vgpr4
                                        ; implicit-def: $vgpr17
                                        ; implicit-def: $vgpr16
                                        ; implicit-def: $vgpr2
                                        ; implicit-def: $vgpr15
                                        ; implicit-def: $vgpr14
                                        ; implicit-def: $vgpr12
                                        ; implicit-def: $vgpr13
                                        ; implicit-def: $vgpr19
                                        ; implicit-def: $vgpr9
                                        ; implicit-def: $vgpr21
                                        ; implicit-def: $vgpr22
                                        ; implicit-def: $vgpr11
                                        ; implicit-def: $vgpr23
                                        ; implicit-def: $vgpr25
                                        ; implicit-def: $vgpr26
	s_and_saveexec_b32 s4, vcc_lo
	s_cbranch_execz .LBB0_5
; %bb.4:
	v_add_nc_u32_e32 v2, 0x400, v36
	v_add_nc_u32_e32 v3, 0x800, v36
	;; [unrolled: 1-line block ×3, first 2 shown]
	ds_load_2addr_b32 v[0:1], v36 offset1:143
	ds_load_2addr_b32 v[10:11], v2 offset0:30 offset1:173
	v_add_nc_u32_e32 v2, 0x1100, v36
	ds_load_2addr_b32 v[8:9], v3 offset0:60 offset1:203
	v_add_nc_u32_e32 v3, 0x1600, v36
	ds_load_2addr_b32 v[6:7], v4 offset0:90 offset1:233
	ds_load_2addr_b32 v[4:5], v2 offset0:56 offset1:199
	;; [unrolled: 1-line block ×3, first 2 shown]
	ds_load_b32 v12, v36 offset:6864
	s_wait_dscnt 0x6
	v_lshrrev_b32_e32 v26, 16, v1
	s_wait_dscnt 0x5
	v_lshrrev_b32_e32 v25, 16, v10
	v_lshrrev_b32_e32 v23, 16, v11
	s_wait_dscnt 0x4
	v_lshrrev_b32_e32 v22, 16, v8
	;; [unrolled: 3-line block ×6, first 2 shown]
.LBB0_5:
	s_wait_alu 0xfffe
	s_or_b32 exec_lo, exec_lo, s4
	s_delay_alu instid0(VALU_DEP_1)
	v_sub_f16_e32 v68, v26, v13
	v_sub_f16_e32 v78, v1, v12
	v_add_f16_e32 v27, v12, v1
	v_add_f16_e32 v29, v13, v26
	v_sub_f16_e32 v69, v25, v14
	v_mul_f16_e32 v45, 0xb770, v68
	v_mul_f16_e32 v48, 0xb770, v78
	v_lshrrev_b32_e32 v28, 16, v0
	v_add_f16_e32 v30, v3, v10
	v_mul_f16_e32 v57, 0xba95, v68
	v_fmamk_f16 v24, v27, 0x3b15, v45
	v_fma_f16 v31, v29, 0x3b15, -v48
	v_mul_f16_e32 v64, 0xba95, v78
	v_mul_f16_e32 v47, 0xba95, v69
	v_sub_f16_e32 v79, v10, v3
	v_add_f16_e32 v24, v24, v0
	v_add_f16_e32 v34, v31, v28
	v_fmamk_f16 v32, v27, 0x388b, v57
	v_fma_f16 v33, v29, 0x388b, -v64
	v_fmamk_f16 v35, v30, 0x388b, v47
	v_add_f16_e32 v31, v14, v25
	v_mul_f16_e32 v51, 0xba95, v79
	v_sub_f16_e32 v71, v23, v15
	v_mul_f16_e32 v60, 0xbb7b, v69
	v_mul_f16_e32 v72, 0xbb7b, v79
	v_sub_f16_e32 v80, v11, v2
	v_add_f16_e32 v38, v32, v0
	v_add_f16_e32 v39, v33, v28
	;; [unrolled: 1-line block ×3, first 2 shown]
	v_fma_f16 v35, v31, 0x388b, -v51
	v_add_f16_e32 v32, v2, v11
	v_mul_f16_e32 v49, 0xbbf1, v71
	v_fmamk_f16 v40, v30, 0xb5ac, v60
	v_fma_f16 v41, v31, 0xb5ac, -v72
	v_add_f16_e32 v33, v15, v23
	v_mul_f16_e32 v53, 0xbbf1, v80
	v_sub_f16_e32 v81, v8, v5
	v_fmamk_f16 v42, v32, 0x2fb7, v49
	v_add_f16_e32 v35, v35, v34
	v_add_f16_e32 v38, v40, v38
	;; [unrolled: 1-line block ×3, first 2 shown]
	v_fma_f16 v41, v33, 0x2fb7, -v53
	v_sub_f16_e32 v73, v22, v16
	v_mul_f16_e32 v65, 0xb3a8, v71
	v_mul_f16_e32 v75, 0xb3a8, v80
	v_add_f16_e32 v39, v16, v22
	v_mul_f16_e32 v54, 0xbb7b, v81
	v_add_f16_e32 v24, v42, v24
	v_add_f16_e32 v34, v5, v8
	v_mul_f16_e32 v50, 0xbb7b, v73
	v_fmamk_f16 v42, v32, 0xbbc4, v65
	v_fma_f16 v43, v33, 0xbbc4, -v75
	v_add_f16_e32 v35, v41, v35
	v_fma_f16 v41, v39, 0xb5ac, -v54
	v_mul_f16_e32 v66, 0x394e, v73
	v_sub_f16_e32 v74, v21, v17
	v_sub_f16_e32 v82, v9, v4
	v_fmamk_f16 v44, v34, 0xb5ac, v50
	v_add_f16_e32 v38, v42, v38
	v_add_f16_e32 v42, v43, v40
	;; [unrolled: 1-line block ×3, first 2 shown]
	v_mul_f16_e32 v76, 0x394e, v81
	v_fmamk_f16 v43, v34, 0xb9fd, v66
	v_add_f16_e32 v40, v4, v9
	v_mul_f16_e32 v52, 0xb94e, v74
	v_add_f16_e32 v41, v17, v21
	v_mul_f16_e32 v58, 0xb94e, v82
	v_mul_f16_e32 v67, 0x3bf1, v74
	v_add_f16_e32 v24, v44, v24
	v_fma_f16 v44, v39, 0xb9fd, -v76
	v_fmamk_f16 v46, v40, 0xb9fd, v52
	v_add_f16_e32 v38, v43, v38
	v_fma_f16 v43, v41, 0xb9fd, -v58
	v_fmamk_f16 v55, v40, 0x2fb7, v67
	v_mul_f16_e32 v77, 0x3bf1, v82
	v_sub_f16_e32 v56, v19, v18
	v_sub_f16_e32 v83, v6, v7
	v_add_f16_e32 v44, v44, v42
	v_add_f16_e32 v24, v46, v24
	;; [unrolled: 1-line block ×4, first 2 shown]
	v_fma_f16 v35, v41, 0x2fb7, -v77
	v_add_f16_e32 v42, v7, v6
	v_add_f16_e32 v43, v18, v19
	v_mul_f16_e32 v55, 0xb3a8, v56
	v_mul_f16_e32 v59, 0xb3a8, v83
	;; [unrolled: 1-line block ×4, first 2 shown]
	v_add_f16_e32 v44, v35, v44
	v_fmamk_f16 v35, v42, 0xbbc4, v55
	v_fma_f16 v62, v43, 0xbbc4, -v59
	v_fmamk_f16 v84, v42, 0x3b15, v61
	v_fma_f16 v85, v43, 0x3b15, -v70
	global_wb scope:SCOPE_SE
	v_add_f16_e32 v35, v35, v24
	v_add_f16_e32 v63, v62, v46
	;; [unrolled: 1-line block ×4, first 2 shown]
	v_mul_lo_u16 v38, v37, 13
	s_barrier_signal -1
	s_barrier_wait -1
	global_inv scope:SCOPE_SE
	s_and_saveexec_b32 s4, vcc_lo
	s_cbranch_execz .LBB0_7
; %bb.6:
	v_mul_f16_e32 v84, 0xb3a8, v78
	v_mul_f16_e32 v85, 0xb3a8, v68
	;; [unrolled: 1-line block ×5, first 2 shown]
	v_fmamk_f16 v44, v29, 0xbbc4, v84
	v_fma_f16 v46, v27, 0xbbc4, -v85
	v_fmamk_f16 v90, v31, 0x3b15, v86
	v_fma_f16 v91, v30, 0x3b15, -v88
	v_mul_f16_e32 v89, 0xb94e, v71
	v_add_f16_e32 v44, v44, v28
	v_add_f16_e32 v46, v46, v0
	v_mul_f16_e32 v92, 0x3a95, v81
	v_fmamk_f16 v93, v33, 0xb9fd, v87
	v_fma_f16 v94, v32, 0xb9fd, -v89
	v_add_f16_e32 v44, v90, v44
	v_add_f16_e32 v46, v91, v46
	v_mul_f16_e32 v91, 0xb94e, v78
	v_mul_f16_e32 v90, 0x3a95, v73
	v_fmamk_f16 v95, v39, 0x388b, v92
	v_add_f16_e32 v44, v93, v44
	v_mul_f16_e32 v93, 0xbb7b, v82
	v_fmamk_f16 v96, v29, 0xb9fd, v91
	v_mul_f16_e32 v97, 0x3bf1, v79
	v_add_f16_e32 v46, v94, v46
	v_fma_f16 v94, v34, 0x388b, -v90
	v_add_f16_e32 v44, v95, v44
	v_fmamk_f16 v95, v41, 0xb5ac, v93
	v_mul_f16_e32 v98, 0xbb7b, v74
	v_add_f16_e32 v96, v96, v28
	v_fmamk_f16 v99, v31, 0x2fb7, v97
	v_mul_f16_e32 v100, 0xba95, v80
	v_add_f16_e32 v46, v94, v46
	v_fma_f16 v94, v40, 0xb5ac, -v98
	v_add_f16_e32 v44, v95, v44
	v_add_f16_e32 v95, v99, v96
	v_fmamk_f16 v96, v33, 0x388b, v100
	v_mul_f16_e32 v99, 0x33a8, v81
	v_add_f16_e32 v46, v94, v46
	v_mul_f16_e32 v94, 0x3bf1, v83
	v_mul_f16_e32 v102, 0x3770, v82
	v_add_f16_e32 v95, v96, v95
	v_fmamk_f16 v96, v39, 0xbbc4, v99
	v_mul_f16_e32 v101, 0x3bf1, v56
	v_fmamk_f16 v103, v43, 0x2fb7, v94
	v_mul_f16_e32 v104, 0xb94e, v68
	v_mul_f16_e32 v106, 0x3bf1, v69
	v_add_f16_e32 v95, v96, v95
	v_fmamk_f16 v96, v41, 0x3b15, v102
	v_fma_f16 v105, v42, 0x2fb7, -v101
	v_add_f16_e32 v44, v103, v44
	v_fma_f16 v103, v27, 0xb9fd, -v104
	v_mul_f16_e32 v107, 0xba95, v71
	v_add_f16_e32 v95, v96, v95
	v_mul_f16_e32 v96, 0xbb7b, v78
	v_add_f16_e32 v46, v105, v46
	v_add_f16_e32 v103, v103, v0
	v_fma_f16 v105, v30, 0x2fb7, -v106
	v_mul_f16_e32 v108, 0xbb7b, v83
	v_fmamk_f16 v109, v29, 0xb5ac, v96
	v_mul_f16_e32 v110, 0x394e, v79
	v_mul_f16_e32 v111, 0x33a8, v73
	v_add_f16_e32 v103, v105, v103
	v_fma_f16 v105, v32, 0x388b, -v107
	v_add_f16_e32 v109, v109, v28
	v_fmamk_f16 v112, v31, 0xb9fd, v110
	v_mul_f16_e32 v113, 0x3770, v80
	v_fmamk_f16 v114, v43, 0xb5ac, v108
	v_add_f16_e32 v103, v105, v103
	v_fma_f16 v105, v34, 0xbbc4, -v111
	v_add_f16_e32 v109, v112, v109
	v_fmamk_f16 v112, v33, 0x3b15, v113
	v_mul_f16_e32 v115, 0xbbf1, v81
	v_add_f16_e32 v95, v114, v95
	v_mul_f16_e32 v114, 0x3770, v74
	v_add_f16_e32 v103, v105, v103
	v_add_f16_e32 v105, v112, v109
	v_fmamk_f16 v109, v39, 0x2fb7, v115
	v_mul_f16_e32 v112, 0x33a8, v82
	v_fma_f16 v116, v40, 0x3b15, -v114
	v_mul_f16_e32 v117, 0xbb7b, v68
	v_mul_f16_e32 v119, 0x394e, v69
	v_add_f16_e32 v105, v109, v105
	v_fmamk_f16 v109, v41, 0xbbc4, v112
	v_add_f16_e32 v103, v116, v103
	v_fma_f16 v116, v27, 0xb5ac, -v117
	v_mul_f16_e32 v78, 0xbbf1, v78
	v_mul_f16_e32 v121, 0x3770, v71
	v_add_f16_e32 v105, v109, v105
	v_mul_f16_e32 v79, 0xb3a8, v79
	v_add_f16_e32 v109, v116, v0
	v_fma_f16 v116, v30, 0xb9fd, -v119
	v_fmamk_f16 v123, v29, 0x2fb7, v78
	v_mul_f16_e32 v124, 0xbbf1, v73
	v_fmamk_f16 v125, v31, 0xbbc4, v79
	v_mul_f16_e32 v80, 0x3b7b, v80
	v_add_f16_e32 v109, v116, v109
	v_fma_f16 v116, v32, 0x3b15, -v121
	v_add_f16_e32 v123, v123, v28
	v_mul_f16_e32 v118, 0xbb7b, v56
	v_mul_f16_e32 v126, 0x33a8, v74
	;; [unrolled: 1-line block ×3, first 2 shown]
	v_add_f16_e32 v109, v116, v109
	v_fma_f16 v116, v34, 0x2fb7, -v124
	v_add_f16_e32 v123, v125, v123
	v_fmamk_f16 v125, v33, 0xb5ac, v80
	v_fma_f16 v120, v42, 0xb5ac, -v118
	v_mul_f16_e32 v127, 0x3a95, v56
	v_add_f16_e32 v109, v116, v109
	v_fma_f16 v116, v40, 0xbbc4, -v126
	v_add_f16_e32 v123, v125, v123
	v_fmamk_f16 v125, v39, 0x3b15, v81
	v_mul_f16_e32 v82, 0xba95, v82
	v_add_f16_e32 v103, v120, v103
	v_add_f16_e32 v109, v116, v109
	v_fma_f16 v116, v42, 0x388b, -v127
	v_add_f16_e32 v123, v125, v123
	v_fmamk_f16 v125, v41, 0x388b, v82
	v_mul_f16_e32 v68, 0xbbf1, v68
	v_mul_f16_e32 v120, 0x388b, v29
	v_add_f16_e32 v109, v116, v109
	v_mul_f16_e32 v69, 0xb3a8, v69
	v_add_f16_e32 v116, v125, v123
	v_fma_f16 v123, v27, 0x2fb7, -v68
	v_mul_f16_e32 v125, 0xb5ac, v31
	v_add_f16_e32 v64, v64, v120
	v_mul_f16_e32 v71, 0x3b7b, v71
	v_mul_f16_e32 v73, 0x3770, v73
	v_add_f16_e32 v120, v123, v0
	v_fma_f16 v123, v30, 0xbbc4, -v69
	v_add_f16_e32 v72, v72, v125
	v_add_f16_e32 v64, v64, v28
	v_mul_f16_e32 v125, 0xbbc4, v33
	v_add_f16_e32 v26, v26, v28
	v_add_f16_e32 v120, v123, v120
	v_fma_f16 v123, v32, 0xb5ac, -v71
	v_add_f16_e32 v64, v72, v64
	v_add_f16_e32 v72, v75, v125
	v_mul_f16_e32 v75, 0x388b, v27
	v_mul_f16_e32 v125, 0xb5ac, v30
	v_add_f16_e32 v120, v123, v120
	v_mul_f16_e32 v123, 0xb9fd, v39
	v_add_f16_e32 v64, v72, v64
	v_sub_f16_e32 v57, v75, v57
	v_sub_f16_e32 v60, v125, v60
	v_fma_f16 v75, v34, 0x3b15, -v73
	v_add_f16_e32 v72, v76, v123
	v_mul_f16_e32 v76, 0xbbc4, v32
	v_add_f16_e32 v57, v57, v0
	v_add_f16_e32 v1, v1, v0
	;; [unrolled: 1-line block ×3, first 2 shown]
	v_mul_f16_e32 v120, 0x2fb7, v41
	v_sub_f16_e32 v65, v76, v65
	v_add_f16_e32 v57, v60, v57
	v_mul_f16_e32 v60, 0xba95, v74
	v_mul_f16_e32 v74, 0x3b15, v29
	v_mul_f16_e32 v76, 0xb9fd, v34
	v_add_f16_e32 v64, v72, v64
	v_add_f16_e32 v57, v65, v57
	v_mul_f16_e32 v65, 0x388b, v31
	v_add_f16_e32 v48, v48, v74
	v_sub_f16_e32 v66, v76, v66
	v_add_f16_e32 v72, v77, v120
	v_fma_f16 v77, v40, 0x388b, -v60
	v_add_f16_e32 v51, v51, v65
	v_add_f16_e32 v48, v48, v28
	v_mul_f16_e32 v65, 0x2fb7, v33
	v_add_f16_e32 v57, v66, v57
	v_mul_f16_e32 v66, 0x3b15, v27
	v_add_f16_e32 v64, v72, v64
	v_add_f16_e32 v48, v51, v48
	;; [unrolled: 1-line block ×3, first 2 shown]
	v_mul_f16_e32 v65, 0x388b, v30
	v_sub_f16_e32 v45, v66, v45
	v_mul_f16_e32 v72, 0x2fb7, v40
	v_mul_f16_e32 v66, 0xb5ac, v39
	v_add_f16_e32 v48, v51, v48
	v_sub_f16_e32 v47, v65, v47
	v_add_f16_e32 v45, v45, v0
	v_sub_f16_e32 v53, v72, v67
	v_add_f16_e32 v54, v54, v66
	v_mul_f16_e32 v65, 0x2fb7, v32
	v_add_f16_e32 v74, v77, v75
	v_add_f16_e32 v45, v47, v45
	v_mul_f16_e32 v47, 0xb9fd, v41
	v_add_f16_e32 v53, v53, v57
	v_sub_f16_e32 v49, v65, v49
	v_mul_f16_e32 v57, 0xb5ac, v34
	v_add_f16_e32 v48, v54, v48
	v_add_f16_e32 v47, v58, v47
	v_mul_f16_e32 v54, 0xb9fd, v40
	v_add_f16_e32 v45, v49, v45
	v_sub_f16_e32 v49, v57, v50
	v_mul_f16_e32 v65, 0x3b15, v42
	v_add_f16_e32 v47, v47, v48
	v_fma_f16 v48, v29, 0xbbc4, -v84
	v_sub_f16_e32 v52, v54, v52
	v_add_f16_e32 v45, v49, v45
	v_mul_f16_e32 v54, 0xb94e, v56
	v_fma_f16 v56, v31, 0x3b15, -v86
	v_add_f16_e32 v48, v48, v28
	v_sub_f16_e32 v50, v65, v61
	v_add_f16_e32 v45, v52, v45
	v_fma_f16 v52, v33, 0xb9fd, -v87
	v_mul_f16_e32 v57, 0xbbc4, v42
	v_add_f16_e32 v48, v56, v48
	v_add_f16_e32 v50, v50, v53
	v_fma_f16 v53, v29, 0xb9fd, -v91
	v_fma_f16 v58, v42, 0xb9fd, -v54
	v_sub_f16_e32 v55, v57, v55
	v_add_f16_e32 v48, v52, v48
	v_fma_f16 v52, v39, 0x388b, -v92
	v_add_f16_e32 v53, v53, v28
	v_fma_f16 v57, v29, 0xb5ac, -v96
	;; [unrolled: 2-line block ×4, first 2 shown]
	v_add_f16_e32 v56, v58, v74
	v_add_f16_e32 v57, v57, v28
	v_fma_f16 v58, v31, 0xb9fd, -v110
	v_add_f16_e32 v25, v25, v26
	v_add_f16_e32 v48, v52, v48
	v_fma_f16 v52, v43, 0x2fb7, -v94
	v_add_f16_e32 v1, v10, v1
	v_mul_f16_e32 v122, 0x3a95, v83
	v_fma_f16 v10, v41, 0xbbc4, -v112
	v_add_f16_e32 v23, v23, v25
	v_add_f16_e32 v48, v52, v48
	;; [unrolled: 1-line block ×3, first 2 shown]
	v_fma_f16 v53, v33, 0x388b, -v100
	v_add_f16_e32 v1, v11, v1
	v_fma_f16 v11, v43, 0x388b, -v122
	v_add_f16_e32 v22, v22, v23
	v_mul_f16_e32 v49, 0xbbc4, v43
	v_add_f16_e32 v52, v53, v52
	v_fma_f16 v53, v39, 0xbbc4, -v99
	v_add_f16_e32 v1, v8, v1
	v_fmac_f16_e32 v85, 0xbbc4, v27
	v_add_f16_e32 v49, v59, v49
	v_fmac_f16_e32 v104, 0xb9fd, v27
	v_add_f16_e32 v52, v53, v52
	v_fma_f16 v53, v41, 0x3b15, -v102
	v_add_f16_e32 v1, v9, v1
	v_fmac_f16_e32 v117, 0xb5ac, v27
	v_fmac_f16_e32 v68, 0x2fb7, v27
	v_add_f16_e32 v47, v49, v47
	v_add_f16_e32 v52, v53, v52
	v_fma_f16 v53, v43, 0xb5ac, -v108
	v_add_f16_e32 v1, v6, v1
	v_add_f16_e32 v49, v85, v0
	v_fmac_f16_e32 v88, 0x3b15, v30
	v_add_f16_e32 v55, v104, v0
	v_add_f16_e32 v52, v53, v52
	;; [unrolled: 1-line block ×3, first 2 shown]
	v_fma_f16 v57, v33, 0x3b15, -v113
	v_add_f16_e32 v1, v7, v1
	v_fmac_f16_e32 v106, 0x2fb7, v30
	v_add_f16_e32 v58, v117, v0
	v_fmac_f16_e32 v119, 0xb9fd, v30
	v_add_f16_e32 v53, v57, v53
	v_fma_f16 v57, v39, 0x2fb7, -v115
	v_add_f16_e32 v1, v4, v1
	v_add_f16_e32 v0, v68, v0
	v_fmac_f16_e32 v69, 0xbbc4, v30
	v_fma_f16 v4, v33, 0xb5ac, -v80
	v_add_f16_e32 v53, v57, v53
	v_add_f16_e32 v1, v5, v1
	;; [unrolled: 1-line block ×3, first 2 shown]
	v_fmac_f16_e32 v89, 0xb9fd, v32
	v_add_f16_e32 v55, v106, v55
	v_add_f16_e32 v10, v10, v53
	v_fmac_f16_e32 v107, 0x388b, v32
	v_add_f16_e32 v58, v119, v58
	v_fmac_f16_e32 v121, 0x3b15, v32
	v_add_f16_e32 v0, v69, v0
	v_add_f16_e32 v10, v11, v10
	;; [unrolled: 1-line block ×3, first 2 shown]
	v_fma_f16 v21, v29, 0x2fb7, -v78
	v_fmac_f16_e32 v71, 0xb5ac, v32
	v_fma_f16 v5, v39, 0x3b15, -v81
	v_add_f16_e32 v1, v2, v1
	v_add_f16_e32 v11, v19, v11
	;; [unrolled: 1-line block ×3, first 2 shown]
	v_fma_f16 v19, v31, 0xbbc4, -v79
	v_add_f16_e32 v49, v89, v49
	v_fmac_f16_e32 v90, 0x388b, v34
	v_add_f16_e32 v11, v18, v11
	v_add_f16_e32 v55, v107, v55
	;; [unrolled: 1-line block ×3, first 2 shown]
	v_fmac_f16_e32 v111, 0xbbc4, v34
	v_add_f16_e32 v26, v121, v58
	v_add_f16_e32 v7, v17, v11
	v_fmac_f16_e32 v124, 0x2fb7, v34
	v_add_f16_e32 v4, v4, v6
	v_add_f16_e32 v0, v71, v0
	;; [unrolled: 3-line block ×3, first 2 shown]
	v_add_f16_e32 v2, v5, v4
	v_mul_f16_e32 v51, 0x3b15, v43
	v_fma_f16 v128, 0x388b, v43, v122
	v_add_f16_e32 v6, v15, v7
	v_mul_f16_e32 v83, 0xb94e, v83
	v_add_f16_e32 v49, v90, v49
	v_fmac_f16_e32 v98, 0xb5ac, v40
	v_add_f16_e32 v55, v111, v55
	v_add_f16_e32 v5, v14, v6
	v_fmac_f16_e32 v114, 0x3b15, v40
	v_add_f16_e32 v25, v124, v26
	v_fmac_f16_e32 v126, 0xbbc4, v40
	v_fma_f16 v4, v41, 0x388b, -v82
	v_add_f16_e32 v0, v73, v0
	v_fmac_f16_e32 v60, 0x388b, v40
	v_add_f16_e32 v3, v13, v5
	v_add_f16_e32 v1, v12, v1
	;; [unrolled: 1-line block ×3, first 2 shown]
	v_add_f16_e64 v105, v128, v105
	v_fma_f16 v128, 0xb9fd, v43, v83
	v_add_f16_e32 v49, v98, v49
	v_fmac_f16_e32 v101, 0x2fb7, v42
	v_add_f16_e32 v55, v114, v55
	v_fmac_f16_e32 v118, 0xb5ac, v42
	;; [unrolled: 2-line block ×3, first 2 shown]
	v_add_f16_e32 v2, v4, v2
	v_fma_f16 v4, v43, 0xb9fd, -v83
	v_add_f16_e32 v0, v60, v0
	v_fmac_f16_e32 v54, 0xb9fd, v42
	v_lshlrev_b32_e32 v3, 16, v3
	v_and_b32_e32 v1, 0xffff, v1
	v_and_b32_e32 v5, 0xffff, v38
	v_add_f16_e32 v51, v51, v64
	v_add_f16_e64 v116, v128, v116
	v_add_f16_e32 v49, v101, v49
	v_add_f16_e32 v8, v118, v55
	v_add_f16_e32 v6, v127, v9
	v_add_f16_e32 v2, v4, v2
	v_add_f16_e32 v0, v54, v0
	v_or_b32_e32 v1, v3, v1
	v_lshlrev_b32_e32 v3, 2, v5
	v_pack_b32_f16 v4, v50, v51
	v_pack_b32_f16 v5, v45, v47
	;; [unrolled: 1-line block ×10, first 2 shown]
	v_perm_b32 v6, v63, v35, 0x5040100
	v_perm_b32 v10, v62, v24, 0x5040100
	ds_store_b32 v3, v1
	ds_store_2addr_b32 v3, v5, v4 offset0:1 offset1:2
	ds_store_2addr_b32 v3, v9, v7 offset0:3 offset1:4
	;; [unrolled: 1-line block ×6, first 2 shown]
.LBB0_7:
	s_wait_alu 0xfffe
	s_or_b32 exec_lo, exec_lo, s4
	v_and_b32_e32 v0, 0xff, v37
	s_load_b128 s[4:7], s[2:3], 0x0
	global_wb scope:SCOPE_SE
	s_wait_dscnt 0x0
	s_wait_kmcnt 0x0
	s_barrier_signal -1
	s_barrier_wait -1
	v_mul_lo_u16 v0, 0x4f, v0
	global_inv scope:SCOPE_SE
	v_add_nc_u32_e32 v18, 0x400, v36
	v_add_nc_u32_e32 v10, 0xa00, v36
	;; [unrolled: 1-line block ×3, first 2 shown]
	v_lshrrev_b16 v23, 10, v0
	v_add_nc_u32_e32 v26, 0x1400, v36
	s_delay_alu instid0(VALU_DEP_2) | instskip(SKIP_1) | instid1(VALU_DEP_2)
	v_mul_lo_u16 v0, v23, 13
	v_and_b32_e32 v23, 0xffff, v23
	v_sub_nc_u16 v0, v37, v0
	s_delay_alu instid0(VALU_DEP_2) | instskip(NEXT) | instid1(VALU_DEP_2)
	v_mul_u32_u24_e32 v23, 0x8f, v23
	v_and_b32_e32 v25, 0xff, v0
	s_delay_alu instid0(VALU_DEP_1) | instskip(NEXT) | instid1(VALU_DEP_3)
	v_mul_u32_u24_e32 v0, 10, v25
	v_add_lshl_u32 v39, v23, v25, 2
	s_delay_alu instid0(VALU_DEP_2)
	v_lshlrev_b32_e32 v8, 2, v0
	s_clause 0x2
	global_load_b128 v[4:7], v8, s[0:1]
	global_load_b128 v[0:3], v8, s[0:1] offset:16
	global_load_b64 v[21:22], v8, s[0:1] offset:32
	ds_load_2addr_b32 v[8:9], v36 offset1:169
	ds_load_b32 v19, v36 offset:6760
	ds_load_2addr_b32 v[16:17], v18 offset0:82 offset1:251
	ds_load_2addr_b32 v[14:15], v10 offset0:36 offset1:205
	;; [unrolled: 1-line block ×4, first 2 shown]
	global_wb scope:SCOPE_SE
	s_wait_loadcnt_dscnt 0x0
	s_barrier_signal -1
	s_barrier_wait -1
	global_inv scope:SCOPE_SE
	v_lshrrev_b32_e32 v26, 16, v9
	v_lshrrev_b32_e32 v27, 16, v19
	;; [unrolled: 1-line block ×16, first 2 shown]
	v_mul_f16_e32 v23, v26, v61
	v_mul_f16_e32 v25, v9, v61
	v_lshrrev_b32_e32 v58, 16, v7
	v_lshrrev_b32_e32 v57, 16, v0
	;; [unrolled: 1-line block ×5, first 2 shown]
	v_mul_f16_e32 v42, v29, v59
	v_mul_f16_e32 v43, v16, v59
	;; [unrolled: 1-line block ×5, first 2 shown]
	v_fma_f16 v9, v9, v4, -v23
	v_fmac_f16_e32 v25, v26, v4
	v_mul_f16_e32 v44, v30, v60
	v_mul_f16_e32 v45, v17, v60
	;; [unrolled: 1-line block ×13, first 2 shown]
	v_fma_f16 v16, v16, v5, -v42
	v_fmac_f16_e32 v43, v29, v5
	v_fma_f16 v11, v11, v21, -v68
	v_fma_f16 v19, v19, v22, -v70
	v_fmac_f16_e32 v71, v27, v22
	v_add_f16_e32 v23, v9, v8
	v_add_f16_e32 v26, v25, v28
	v_fma_f16 v17, v17, v6, -v44
	v_fmac_f16_e32 v45, v30, v6
	v_fma_f16 v14, v14, v7, -v46
	v_fmac_f16_e32 v47, v31, v7
	;; [unrolled: 2-line block ×6, first 2 shown]
	v_fmac_f16_e32 v69, v41, v21
	v_add_f16_e32 v27, v9, v19
	v_add_f16_e32 v29, v25, v71
	v_sub_f16_e32 v9, v9, v19
	v_sub_f16_e32 v25, v25, v71
	v_add_f16_e32 v30, v16, v11
	v_sub_f16_e32 v32, v16, v11
	v_add_f16_e32 v16, v23, v16
	v_add_f16_e32 v23, v26, v43
	;; [unrolled: 1-line block ×3, first 2 shown]
	v_sub_f16_e32 v33, v43, v69
	v_add_f16_e32 v34, v17, v10
	v_sub_f16_e32 v41, v17, v10
	v_sub_f16_e32 v42, v45, v67
	;; [unrolled: 1-line block ×6, first 2 shown]
	v_mul_f16_e32 v26, 0xb853, v25
	v_mul_f16_e32 v43, 0xb853, v9
	;; [unrolled: 1-line block ×10, first 2 shown]
	v_add_f16_e32 v16, v16, v17
	v_add_f16_e32 v17, v23, v45
	;; [unrolled: 1-line block ×7, first 2 shown]
	v_mul_f16_e32 v78, 0xbb47, v33
	v_mul_f16_e32 v79, 0xbb47, v32
	;; [unrolled: 1-line block ×40, first 2 shown]
	v_fma_f16 v23, v27, 0x3abb, -v26
	v_fmamk_f16 v45, v29, 0x3abb, v43
	v_fmac_f16_e32 v26, 0x3abb, v27
	v_fma_f16 v43, v29, 0x3abb, -v43
	v_fma_f16 v110, v27, 0x36a6, -v72
	v_fmamk_f16 v111, v29, 0x36a6, v73
	v_fmac_f16_e32 v72, 0x36a6, v27
	v_fma_f16 v73, v29, 0x36a6, -v73
	v_fma_f16 v112, v27, 0xb08e, -v74
	v_fmamk_f16 v113, v29, 0xb08e, v75
	v_fmac_f16_e32 v74, 0xb08e, v27
	v_fma_f16 v114, v27, 0xb93d, -v76
	v_fmac_f16_e32 v76, 0xb93d, v27
	v_fma_f16 v116, v27, 0xbbad, -v25
	v_fmamk_f16 v117, v29, 0xbbad, v9
	v_fmac_f16_e32 v25, 0xbbad, v27
	v_fma_f16 v9, v29, 0xbbad, -v9
	v_add_f16_e32 v14, v16, v14
	v_add_f16_e32 v16, v17, v47
	v_fma_f16 v75, v29, 0xb08e, -v75
	v_fmamk_f16 v115, v29, 0xb93d, v77
	v_fma_f16 v77, v29, 0xb93d, -v77
	v_fma_f16 v27, v30, 0x36a6, -v78
	v_fmamk_f16 v29, v31, 0x36a6, v79
	v_fmac_f16_e32 v78, 0x36a6, v30
	v_fma_f16 v79, v31, 0x36a6, -v79
	v_fma_f16 v118, v30, 0xb93d, -v80
	v_fmamk_f16 v119, v31, 0xb93d, v81
	v_fmac_f16_e32 v80, 0xb93d, v30
	;; [unrolled: 4-line block ×7, first 2 shown]
	v_fma_f16 v89, v40, 0xbbad, -v89
	v_fma_f16 v128, v34, 0x36a6, -v90
	v_fma_f16 v129, 0x36a6, v40, v91
	v_fmac_f16_e32 v90, 0x36a6, v34
	v_fma_f16 v91, v40, 0x36a6, -v91
	v_fma_f16 v130, v34, 0x3abb, -v92
	v_fma_f16 v131, 0x3abb, v40, v93
	v_fmac_f16_e32 v92, 0x3abb, v34
	;; [unrolled: 4-line block ×3, first 2 shown]
	v_fma_f16 v34, v40, 0xb93d, -v41
	v_fma_f16 v40, v44, 0xb93d, -v94
	v_fmamk_f16 v41, v46, 0xb93d, v95
	v_fmac_f16_e32 v94, 0xb93d, v44
	v_fma_f16 v95, v46, 0xb93d, -v95
	v_fma_f16 v134, v44, 0xb08e, -v96
	v_fma_f16 v135, 0xb08e, v46, v97
	v_fmac_f16_e32 v96, 0xb08e, v44
	v_fma_f16 v97, v46, 0xb08e, -v97
	v_fma_f16 v136, v44, 0x3abb, -v98
	v_fma_f16 v137, 0x3abb, v46, v99
	;; [unrolled: 4-line block ×4, first 2 shown]
	v_fmac_f16_e32 v50, 0x36a6, v44
	v_fma_f16 v44, v46, 0x36a6, -v48
	v_fma_f16 v46, v64, 0xbbad, -v102
	v_fmac_f16_e32 v102, 0xbbad, v64
	v_fma_f16 v48, v64, 0x3abb, -v104
	v_fmac_f16_e32 v104, 0x3abb, v64
	;; [unrolled: 2-line block ×5, first 2 shown]
	v_fmamk_f16 v64, v66, 0xbbad, v103
	v_fma_f16 v103, v66, 0xbbad, -v103
	v_fma_f16 v145, 0x3abb, v66, v105
	v_fma_f16 v105, v66, 0x3abb, -v105
	v_fma_f16 v146, 0xb93d, v66, v107
	;; [unrolled: 2-line block ×4, first 2 shown]
	v_fma_f16 v66, v66, 0xb08e, -v68
	v_add_f16_e32 v23, v23, v8
	v_add_f16_e32 v26, v26, v8
	;; [unrolled: 1-line block ×46, first 2 shown]
	v_add_f16_e64 v29, v128, v43
	v_add_f16_e32 v31, v90, v47
	v_add_f16_e64 v33, v130, v68
	v_add_f16_e32 v8, v42, v8
	v_add_f16_e32 v9, v34, v9
	;; [unrolled: 1-line block ×11, first 2 shown]
	v_add_f16_e64 v29, v136, v29
	v_add_f16_e32 v31, v98, v31
	v_add_f16_e64 v33, v138, v33
	v_add_f16_e32 v8, v50, v8
	v_add_f16_e32 v9, v44, v9
	;; [unrolled: 1-line block ×4, first 2 shown]
	v_add_f16_e64 v30, v129, v45
	v_add_f16_e32 v32, v91, v49
	v_add_f16_e64 v43, v131, v72
	v_add_f16_e32 v45, v92, v73
	v_add_f16_e32 v47, v93, v74
	v_add_f16_e64 v49, v132, v75
	v_add_f16_e64 v51, v133, v76
	v_add_f16_e32 v81, v105, v28
	v_add_f16_e64 v28, v142, v29
	v_add_f16_e32 v29, v106, v31
	;; [unrolled: 2-line block ×3, first 2 shown]
	v_add_f16_e32 v87, v66, v9
	v_add_f16_e32 v8, v10, v11
	;; [unrolled: 1-line block ×5, first 2 shown]
	v_add_f16_e64 v25, v134, v25
	v_add_f16_e64 v34, v135, v26
	;; [unrolled: 1-line block ×3, first 2 shown]
	v_add_f16_e32 v32, v99, v32
	v_add_f16_e64 v42, v139, v43
	v_add_f16_e32 v43, v100, v45
	v_add_f16_e32 v45, v101, v47
	v_add_f16_e64 v47, v140, v49
	v_add_f16_e64 v49, v141, v51
	v_add_f16_e32 v9, v9, v71
	v_add_f16_e32 v8, v8, v19
	;; [unrolled: 1-line block ×6, first 2 shown]
	v_add_f16_e64 v75, v145, v34
	v_add_f16_e64 v83, v146, v41
	v_add_f16_e32 v82, v107, v32
	v_add_f16_e64 v85, v147, v42
	v_add_f16_e64 v32, v144, v47
	;; [unrolled: 1-line block ×3, first 2 shown]
	v_lshlrev_b32_e32 v9, 16, v9
	v_and_b32_e32 v8, 0xffff, v8
	v_add_f16_e32 v34, v108, v43
	v_add_f16_e32 v84, v109, v45
	;; [unrolled: 1-line block ×7, first 2 shown]
	v_pack_b32_f16 v11, v27, v75
	v_pack_b32_f16 v12, v28, v83
	v_pack_b32_f16 v13, v31, v85
	v_pack_b32_f16 v14, v32, v86
	v_or_b32_e32 v25, v9, v8
	v_pack_b32_f16 v15, v33, v87
	v_pack_b32_f16 v16, v34, v84
	;; [unrolled: 1-line block ×6, first 2 shown]
	ds_store_2addr_b32 v39, v11, v12 offset0:26 offset1:39
	ds_store_2addr_b32 v39, v13, v14 offset0:52 offset1:65
	;; [unrolled: 1-line block ×4, first 2 shown]
	ds_store_b32 v39, v40 offset:520
	ds_store_2addr_b32 v39, v25, v10 offset1:13
	global_wb scope:SCOPE_SE
	s_wait_dscnt 0x0
	s_barrier_signal -1
	s_barrier_wait -1
	global_inv scope:SCOPE_SE
	s_and_saveexec_b32 s2, vcc_lo
	s_cbranch_execz .LBB0_9
; %bb.8:
	v_add_nc_u32_e32 v8, 0x800, v36
	v_add_nc_u32_e32 v9, 0xc00, v36
	;; [unrolled: 1-line block ×3, first 2 shown]
	ds_load_2addr_b32 v[25:26], v36 offset1:143
	ds_load_2addr_b32 v[27:28], v18 offset0:30 offset1:173
	ds_load_2addr_b32 v[31:32], v8 offset0:60 offset1:203
	v_add_nc_u32_e32 v8, 0x1600, v36
	ds_load_2addr_b32 v[33:34], v9 offset0:90 offset1:233
	ds_load_2addr_b32 v[29:30], v10 offset0:56 offset1:199
	;; [unrolled: 1-line block ×3, first 2 shown]
	ds_load_b32 v35, v36 offset:6864
	s_wait_dscnt 0x6
	v_lshrrev_b32_e32 v74, 16, v26
	s_wait_dscnt 0x5
	v_lshrrev_b32_e32 v75, 16, v27
	v_lshrrev_b32_e32 v83, 16, v28
	s_wait_dscnt 0x4
	v_lshrrev_b32_e32 v85, 16, v31
	;; [unrolled: 3-line block ×6, first 2 shown]
.LBB0_9:
	s_wait_alu 0xfffe
	s_or_b32 exec_lo, exec_lo, s2
	v_add_nc_u32_e32 v8, 0xffffff71, v37
	v_lshrrev_b32_e32 v71, 16, v25
	s_delay_alu instid0(VALU_DEP_2) | instskip(NEXT) | instid1(VALU_DEP_1)
	v_cndmask_b32_e32 v8, v8, v37, vcc_lo
	v_mul_i32_i24_e32 v9, 48, v8
	v_mul_hi_i32_i24_e32 v8, 48, v8
	s_delay_alu instid0(VALU_DEP_2) | instskip(SKIP_1) | instid1(VALU_DEP_2)
	v_add_co_u32 v16, s0, s0, v9
	s_wait_alu 0xf1ff
	v_add_co_ci_u32_e64 v17, s0, s1, v8, s0
	s_clause 0x2
	global_load_b128 v[12:15], v[16:17], off offset:520
	global_load_b128 v[8:11], v[16:17], off offset:536
	;; [unrolled: 1-line block ×3, first 2 shown]
	s_wait_loadcnt 0x2
	v_lshrrev_b32_e32 v50, 16, v12
	v_lshrrev_b32_e32 v48, 16, v13
	s_wait_loadcnt 0x0
	v_lshrrev_b32_e32 v47, 16, v17
	v_lshrrev_b32_e32 v49, 16, v18
	;; [unrolled: 1-line block ×3, first 2 shown]
	v_mul_f16_e32 v77, v74, v50
	v_mul_f16_e32 v88, v26, v50
	v_lshrrev_b32_e32 v46, 16, v14
	v_mul_f16_e32 v79, v75, v48
	v_mul_f16_e32 v78, v27, v48
	v_mul_f16_e32 v96, v80, v47
	v_mul_f16_e32 v65, v24, v49
	v_mul_f16_e32 v98, v63, v51
	v_mul_f16_e32 v64, v35, v51
	v_fma_f16 v99, v26, v12, -v77
	v_fmac_f16_e32 v88, v74, v12
	v_lshrrev_b32_e32 v44, 16, v15
	v_lshrrev_b32_e32 v42, 16, v8
	;; [unrolled: 1-line block ×6, first 2 shown]
	v_mul_f16_e32 v89, v83, v46
	v_mul_f16_e32 v76, v28, v46
	;; [unrolled: 1-line block ×4, first 2 shown]
	v_fma_f16 v79, v27, v13, -v79
	v_fmac_f16_e32 v78, v75, v13
	v_fma_f16 v26, v23, v17, -v96
	v_fma_f16 v23, v35, v19, -v98
	v_fmac_f16_e32 v64, v63, v19
	v_fmac_f16_e32 v65, v62, v18
	v_add_f16_e32 v35, v99, v25
	v_add_f16_e32 v62, v88, v71
	v_mul_f16_e32 v90, v85, v44
	v_mul_f16_e32 v73, v31, v44
	;; [unrolled: 1-line block ×8, first 2 shown]
	v_fma_f16 v77, v28, v14, -v89
	v_fmac_f16_e32 v76, v83, v14
	v_fmac_f16_e32 v66, v80, v17
	v_fma_f16 v24, v24, v18, -v97
	v_sub_f16_e32 v63, v99, v23
	v_sub_f16_e32 v80, v88, v64
	v_add_f16_e32 v35, v35, v79
	v_add_f16_e32 v62, v62, v78
	v_mul_f16_e32 v72, v32, v42
	v_mul_f16_e32 v70, v33, v40
	;; [unrolled: 1-line block ×4, first 2 shown]
	v_fma_f16 v75, v31, v15, -v90
	v_fmac_f16_e32 v73, v85, v15
	v_fma_f16 v74, v32, v8, -v91
	v_fma_f16 v32, v33, v9, -v92
	;; [unrolled: 1-line block ×3, first 2 shown]
	v_fmac_f16_e32 v69, v84, v10
	v_fma_f16 v28, v29, v11, -v94
	v_fma_f16 v27, v30, v16, -v95
	v_add_f16_e32 v29, v99, v23
	v_add_f16_e32 v30, v88, v64
	;; [unrolled: 1-line block ×4, first 2 shown]
	v_sub_f16_e32 v83, v79, v24
	v_sub_f16_e32 v84, v78, v65
	v_mul_f16_e32 v78, 0xb770, v80
	v_mul_f16_e32 v79, 0xb770, v63
	;; [unrolled: 1-line block ×12, first 2 shown]
	v_add_f16_e32 v35, v35, v77
	v_add_f16_e32 v62, v62, v76
	v_fmac_f16_e32 v72, v86, v8
	v_fmac_f16_e32 v68, v82, v11
	v_add_f16_e32 v82, v76, v66
	v_sub_f16_e32 v86, v76, v66
	v_mul_f16_e32 v107, 0xba95, v84
	v_mul_f16_e32 v108, 0xba95, v83
	;; [unrolled: 1-line block ×12, first 2 shown]
	v_fma_f16 v76, v29, 0x3b15, -v78
	v_fmac_f16_e32 v78, 0x3b15, v29
	v_fma_f16 v148, v29, 0x388b, -v99
	v_fmac_f16_e32 v99, 0x388b, v29
	;; [unrolled: 2-line block ×6, first 2 shown]
	v_fma_f16 v29, v30, 0xbbc4, -v63
	v_add_f16_e32 v35, v35, v75
	v_add_f16_e32 v62, v62, v73
	v_fmac_f16_e32 v70, v87, v9
	v_fmac_f16_e32 v67, v81, v16
	v_add_f16_e32 v81, v77, v26
	v_sub_f16_e32 v85, v77, v26
	v_fmamk_f16 v77, v30, 0x3b15, v79
	v_fma_f16 v79, v30, 0x3b15, -v79
	v_fma_f16 v149, 0x388b, v30, v100
	v_fma_f16 v100, v30, 0x388b, -v100
	v_fma_f16 v151, 0x2fb7, v30, v102
	;; [unrolled: 2-line block ×5, first 2 shown]
	v_fma_f16 v30, v33, 0x388b, -v107
	v_fmac_f16_e32 v107, 0x388b, v33
	v_fma_f16 v158, v33, 0xb5ac, -v109
	v_fmac_f16_e32 v109, 0xb5ac, v33
	;; [unrolled: 2-line block ×6, first 2 shown]
	v_fma_f16 v33, v34, 0x3b15, -v83
	v_add_f16_e32 v29, v29, v71
	v_add_f16_e32 v35, v35, v74
	;; [unrolled: 1-line block ×4, first 2 shown]
	v_sub_f16_e32 v98, v32, v31
	v_add_f16_e32 v29, v33, v29
	v_add_f16_e32 v32, v35, v32
	;; [unrolled: 1-line block ×4, first 2 shown]
	v_sub_f16_e32 v93, v74, v28
	v_add_f16_e32 v87, v75, v27
	v_add_f16_e32 v31, v32, v31
	;; [unrolled: 1-line block ×3, first 2 shown]
	v_sub_f16_e32 v89, v75, v27
	v_sub_f16_e32 v90, v73, v67
	;; [unrolled: 1-line block ×3, first 2 shown]
	v_add_f16_e32 v28, v31, v28
	v_add_f16_e32 v31, v32, v68
	;; [unrolled: 1-line block ×4, first 2 shown]
	v_mul_f16_e32 v117, 0xbbf1, v86
	v_add_f16_e32 v27, v28, v27
	v_add_f16_e32 v31, v31, v67
	v_mul_f16_e32 v118, 0xbbf1, v85
	v_mul_f16_e32 v119, 0xb3a8, v86
	;; [unrolled: 1-line block ×12, first 2 shown]
	v_mul_f16_e64 v128, 0xbb7b, v89
	v_mul_f16_e64 v129, 0x394e, v90
	;; [unrolled: 1-line block ×9, first 2 shown]
	v_mul_f16_e32 v90, 0x3a95, v90
	v_mul_f16_e32 v89, 0x3a95, v89
	v_mul_f16_e64 v137, 0xb94e, v94
	v_mul_f16_e64 v138, 0xb94e, v93
	;; [unrolled: 1-line block ×10, first 2 shown]
	v_mul_f16_e32 v94, 0xbb7b, v94
	v_mul_f16_e32 v93, 0xbb7b, v93
	v_add_f16_e32 v76, v76, v25
	v_add_f16_e32 v28, v31, v66
	;; [unrolled: 1-line block ×3, first 2 shown]
	v_fmamk_f16 v63, v34, 0x388b, v108
	v_fma_f16 v108, v34, 0x388b, -v108
	v_fma_f16 v159, 0xb5ac, v34, v110
	v_fma_f16 v110, v34, 0xb5ac, -v110
	v_fma_f16 v161, 0xbbc4, v34, v112
	v_fma_f16 v112, v34, 0xbbc4, -v112
	v_fma_f16 v163, 0xb9fd, v34, v114
	v_fma_f16 v114, v34, 0xb9fd, -v114
	v_fma_f16 v165, 0x2fb7, v34, v116
	v_fma_f16 v116, v34, 0x2fb7, -v116
	v_fma_f16 v167, 0x3b15, v34, v83
	v_fma_f16 v34, v81, 0x2fb7, -v117
	v_fmamk_f16 v83, v82, 0x2fb7, v118
	v_fmac_f16_e32 v117, 0x2fb7, v81
	v_fma_f16 v118, v82, 0x2fb7, -v118
	v_fma_f16 v168, v81, 0xbbc4, -v119
	v_fma_f16 v169, 0xbbc4, v82, v120
	v_fmac_f16_e32 v119, 0xbbc4, v81
	v_fma_f16 v120, v82, 0xbbc4, -v120
	v_fma_f16 v170, v81, 0xb5ac, -v121
	v_fma_f16 v171, 0xb5ac, v82, v122
	;; [unrolled: 4-line block ×7, first 2 shown]
	v_fmac_f16_e64 v129, 0xb9fd, v87
	v_fma_f16 v130, v88, 0xb9fd, -v130
	v_fma_f16 v180, v87, 0x3b15, -v131
	v_fma_f16 v181, 0x3b15, v88, v132
	v_fmac_f16_e64 v131, 0x3b15, v87
	v_fma_f16 v132, v88, 0x3b15, -v132
	v_fma_f16 v182, v87, 0x2fb7, -v133
	v_fma_f16 v183, 0x2fb7, v88, v134
	;; [unrolled: 4-line block ×4, first 2 shown]
	v_fmac_f16_e32 v90, 0x388b, v87
	v_fma_f16 v87, v88, 0x388b, -v89
	v_fma_f16 v88, v91, 0xb9fd, -v137
	v_fma_f16 v89, 0xb9fd, v92, v138
	v_fmac_f16_e64 v137, 0xb9fd, v91
	v_fma_f16 v138, v92, 0xb9fd, -v138
	v_fma_f16 v188, v91, 0x2fb7, -v139
	v_fma_f16 v189, 0x2fb7, v92, v140
	v_fmac_f16_e64 v139, 0x2fb7, v91
	v_fma_f16 v140, v92, 0x2fb7, -v140
	v_fma_f16 v190, v91, 0x388b, -v141
	v_fmac_f16_e64 v141, 0x388b, v91
	v_fma_f16 v191, v91, 0xbbc4, -v143
	v_fmac_f16_e64 v143, 0xbbc4, v91
	;; [unrolled: 2-line block ×3, first 2 shown]
	v_fma_f16 v193, v91, 0xb5ac, -v94
	v_fmac_f16_e32 v94, 0xb5ac, v91
	v_fma_f16 v91, 0x388b, v92, v142
	v_fma_f16 v142, v92, 0x388b, -v142
	v_fma_f16 v194, 0xbbc4, v92, v144
	v_fma_f16 v144, v92, 0xbbc4, -v144
	;; [unrolled: 2-line block ×4, first 2 shown]
	v_add_f16_e32 v78, v78, v25
	v_add_f16_e64 v93, v148, v25
	v_add_f16_e32 v99, v99, v25
	v_add_f16_e64 v148, v150, v25
	v_add_f16_e32 v101, v101, v25
	v_add_f16_e64 v150, v152, v25
	v_add_f16_e32 v103, v103, v25
	v_add_f16_e64 v152, v154, v25
	v_add_f16_e32 v105, v105, v25
	v_add_f16_e64 v154, v156, v25
	v_add_f16_e32 v25, v80, v25
	v_add_f16_e32 v73, v77, v71
	;; [unrolled: 1-line block ×3, first 2 shown]
	v_add_f16_e64 v77, v149, v71
	v_add_f16_e32 v79, v100, v71
	v_add_f16_e64 v80, v151, v71
	v_add_f16_e32 v100, v102, v71
	;; [unrolled: 2-line block ×5, first 2 shown]
	v_add_f16_e32 v27, v28, v65
	v_add_f16_e32 v24, v26, v24
	v_sub_f16_e32 v96, v70, v69
	v_add_f16_e32 v63, v63, v73
	v_add_f16_e32 v71, v107, v78
	;; [unrolled: 1-line block ×3, first 2 shown]
	v_add_f16_e64 v73, v158, v93
	v_add_f16_e64 v74, v159, v77
	v_add_f16_e32 v75, v109, v99
	v_add_f16_e32 v76, v110, v79
	v_add_f16_e64 v77, v160, v148
	v_add_f16_e64 v78, v161, v80
	v_add_f16_e32 v79, v111, v101
	v_add_f16_e32 v80, v112, v100
	;; [unrolled: 4-line block ×5, first 2 shown]
	v_add_f16_e32 v26, v27, v64
	v_add_f16_e32 v23, v24, v23
	;; [unrolled: 1-line block ×3, first 2 shown]
	v_mul_f16_e64 v147, 0xb3a8, v96
	v_add_f16_e32 v34, v83, v63
	v_add_f16_e32 v35, v117, v71
	v_and_b32_e32 v23, 0xffff, v23
	v_add_f16_e32 v62, v118, v72
	v_add_f16_e64 v63, v168, v73
	v_add_f16_e64 v70, v169, v74
	v_add_f16_e32 v71, v119, v75
	v_add_f16_e32 v72, v120, v76
	v_add_f16_e64 v73, v170, v77
	v_add_f16_e64 v74, v171, v78
	v_add_f16_e32 v75, v121, v79
	;; [unrolled: 4-line block ×5, first 2 shown]
	v_add_f16_e32 v29, v81, v29
	v_add_f16_e32 v30, v82, v30
	v_lshlrev_b32_e32 v24, 16, v26
	v_add_f16_e32 v33, v85, v34
	v_add_f16_e32 v34, v127, v35
	v_add_f16_e64 v35, v128, v62
	v_add_f16_e64 v62, v178, v63
	v_add_f16_e64 v63, v179, v70
	v_add_f16_e64 v69, v129, v71
	v_add_f16_e64 v70, v130, v72
	v_add_f16_e64 v71, v180, v73
	v_add_f16_e64 v72, v181, v74
	v_add_f16_e64 v73, v131, v75
	v_add_f16_e64 v74, v132, v76
	v_add_f16_e64 v75, v182, v77
	v_add_f16_e64 v76, v183, v78
	v_add_f16_e64 v77, v133, v79
	v_add_f16_e64 v78, v134, v80
	v_add_f16_e64 v79, v184, v83
	v_add_f16_e64 v80, v185, v84
	v_add_f16_e64 v81, v135, v93
	v_add_f16_e64 v82, v136, v99
	v_add_f16_e64 v83, v186, v100
	v_add_f16_e64 v84, v187, v101
	v_add_f16_e32 v25, v90, v25
	v_add_f16_e32 v29, v87, v29
	;; [unrolled: 1-line block ×3, first 2 shown]
	v_or_b32_e32 v24, v24, v23
	v_fma_f16 v23, v95, 0xbbc4, -v147
	v_mul_f16_e32 v26, 0xb3a8, v98
	v_add_f16_e32 v32, v89, v33
	v_add_f16_e64 v33, v137, v34
	v_add_f16_e64 v34, v138, v35
	;; [unrolled: 1-line block ×15, first 2 shown]
	v_add_f16_e32 v83, v94, v25
	v_add_f16_e32 v84, v92, v29
	;; [unrolled: 1-line block ×3, first 2 shown]
	v_fmamk_f16 v23, v97, 0xbbc4, v26
	v_mul_f16_e32 v27, 0x3770, v96
	v_fma_f16 v26, v97, 0xbbc4, -v26
	v_mul_f16_e32 v29, 0x3770, v98
	v_add_f16_e64 v35, v188, v62
	v_add_f16_e64 v62, v189, v63
	;; [unrolled: 1-line block ×3, first 2 shown]
	v_add_f16_e32 v71, v23, v32
	v_fma_f16 v23, v95, 0x3b15, -v27
	v_add_f16_e32 v66, v26, v34
	v_fmamk_f16 v26, v97, 0x3b15, v29
	v_mul_f16_e32 v30, 0xb94e, v96
	v_add_f16_e64 v63, v139, v69
	v_fmac_f16_e64 v147, 0xbbc4, v95
	v_add_f16_e32 v28, v23, v35
	v_fma_f16 v23, v97, 0x3b15, -v29
	v_add_f16_e32 v69, v26, v62
	v_fma_f16 v26, v95, 0xb9fd, -v30
	v_mul_f16_e32 v32, 0xb94e, v98
	v_add_f16_e32 v68, v91, v72
	v_add_f16_e64 v65, v147, v33
	v_add_f16_e32 v67, v23, v67
	v_mul_f16_e32 v23, 0x3a95, v96
	v_add_f16_e32 v29, v26, v31
	v_fmamk_f16 v26, v97, 0xb9fd, v32
	v_fmac_f16_e32 v30, 0xb9fd, v95
	v_mul_f16_e32 v33, 0x3a95, v98
	v_fmac_f16_e32 v27, 0x3b15, v95
	v_fma_f16 v31, v97, 0xb9fd, -v32
	v_fma_f16 v32, v95, 0x388b, -v23
	v_add_f16_e32 v72, v26, v68
	v_add_f16_e32 v26, v30, v70
	v_fmamk_f16 v30, v97, 0x388b, v33
	v_mul_f16_e32 v34, 0xbb7b, v96
	v_fmac_f16_e32 v23, 0x388b, v95
	v_mul_f16_e32 v35, 0xbb7b, v98
	v_add_f16_e32 v27, v27, v63
	v_add_f16_e32 v68, v31, v73
	;; [unrolled: 1-line block ×3, first 2 shown]
	v_fma_f16 v33, v97, 0x388b, -v33
	v_add_f16_e32 v74, v30, v75
	v_fma_f16 v30, v95, 0xb5ac, -v34
	v_add_f16_e32 v31, v23, v64
	v_fmamk_f16 v23, v97, 0xb5ac, v35
	v_fmac_f16_e32 v34, 0xb5ac, v95
	v_mul_f16_e32 v62, 0x3bf1, v96
	v_mul_f16_e32 v63, 0x3bf1, v98
	v_add_f16_e32 v70, v33, v76
	v_add_f16_e32 v33, v30, v77
	;; [unrolled: 1-line block ×4, first 2 shown]
	v_fma_f16 v23, v97, 0xb5ac, -v35
	v_fma_f16 v34, v95, 0x2fb7, -v62
	v_fmamk_f16 v35, v97, 0x2fb7, v63
	v_fmac_f16_e32 v62, 0x2fb7, v95
	v_fma_f16 v63, v97, 0x2fb7, -v63
	v_add_f16_e32 v73, v23, v80
	v_add_f16_e32 v34, v34, v81
	;; [unrolled: 1-line block ×5, first 2 shown]
	s_and_saveexec_b32 s0, vcc_lo
	s_cbranch_execz .LBB0_11
; %bb.10:
	v_perm_b32 v23, v71, v25, 0x5040100
	v_perm_b32 v62, v69, v28, 0x5040100
	v_perm_b32 v63, v72, v29, 0x5040100
	v_add_nc_u32_e32 v64, 0x400, v36
	v_perm_b32 v78, v76, v35, 0x5040100
	ds_store_2addr_b32 v36, v24, v23 offset1:143
	ds_store_2addr_b32 v64, v62, v63 offset0:30 offset1:173
	v_perm_b32 v23, v74, v32, 0x5040100
	v_perm_b32 v62, v75, v33, 0x5040100
	v_add_nc_u32_e32 v63, 0x800, v36
	v_perm_b32 v64, v77, v34, 0x5040100
	v_add_nc_u32_e32 v79, 0xc00, v36
	v_perm_b32 v80, v73, v30, 0x5040100
	v_perm_b32 v81, v70, v31, 0x5040100
	v_add_nc_u32_e32 v82, 0x1100, v36
	v_perm_b32 v83, v68, v26, 0x5040100
	v_perm_b32 v84, v67, v27, 0x5040100
	v_add_nc_u32_e32 v85, 0x1600, v36
	v_perm_b32 v86, v66, v65, 0x5040100
	ds_store_2addr_b32 v63, v23, v62 offset0:60 offset1:203
	ds_store_2addr_b32 v79, v64, v78 offset0:90 offset1:233
	;; [unrolled: 1-line block ×4, first 2 shown]
	ds_store_b32 v36, v86 offset:6864
.LBB0_11:
	s_wait_alu 0xfffe
	s_or_b32 exec_lo, exec_lo, s0
	global_wb scope:SCOPE_SE
	s_wait_dscnt 0x0
	s_barrier_signal -1
	s_barrier_wait -1
	global_inv scope:SCOPE_SE
	s_and_saveexec_b32 s2, vcc_lo
	s_cbranch_execz .LBB0_13
; %bb.12:
	global_load_b32 v23, v36, s[20:21] offset:7436
	s_add_nc_u64 s[0:1], s[20:21], 0x1d0c
	s_clause 0xb
	global_load_b32 v64, v36, s[0:1] offset:572
	global_load_b32 v88, v36, s[0:1] offset:1144
	;; [unrolled: 1-line block ×12, first 2 shown]
	ds_load_b32 v62, v36
	v_add_nc_u32_e32 v99, 0x200, v36
	v_add_nc_u32_e32 v100, 0x600, v36
	;; [unrolled: 1-line block ×5, first 2 shown]
	s_wait_dscnt 0x0
	v_lshrrev_b32_e32 v63, 16, v62
	s_wait_loadcnt 0xb
	v_lshrrev_b32_e32 v104, 16, v64
	s_wait_loadcnt 0xa
	v_lshrrev_b32_e32 v105, 16, v88
	s_wait_loadcnt 0x9
	v_lshrrev_b32_e32 v106, 16, v89
	s_wait_loadcnt 0x8
	v_lshrrev_b32_e32 v107, 16, v90
	s_wait_loadcnt 0x7
	v_lshrrev_b32_e32 v108, 16, v91
	s_wait_loadcnt 0x6
	v_lshrrev_b32_e32 v109, 16, v92
	s_wait_loadcnt 0x5
	v_lshrrev_b32_e32 v110, 16, v93
	s_wait_loadcnt 0x4
	v_lshrrev_b32_e32 v111, 16, v94
	v_lshrrev_b32_e32 v78, 16, v23
	s_wait_loadcnt 0x3
	v_lshrrev_b32_e32 v112, 16, v95
	s_wait_loadcnt 0x2
	;; [unrolled: 2-line block ×4, first 2 shown]
	v_lshrrev_b32_e32 v115, 16, v98
	v_mul_f16_e32 v79, v63, v78
	v_mul_f16_e32 v78, v62, v78
	s_delay_alu instid0(VALU_DEP_2) | instskip(NEXT) | instid1(VALU_DEP_2)
	v_fma_f16 v62, v62, v23, -v79
	v_fmac_f16_e32 v78, v63, v23
	s_delay_alu instid0(VALU_DEP_1)
	v_pack_b32_f16 v23, v62, v78
	ds_store_b32 v36, v23
	v_add_nc_u32_e32 v23, 0x1400, v36
	ds_load_2addr_b32 v[62:63], v99 offset0:15 offset1:158
	ds_load_2addr_b32 v[78:79], v100 offset0:45 offset1:188
	;; [unrolled: 1-line block ×6, first 2 shown]
	s_wait_dscnt 0x5
	v_lshrrev_b32_e32 v116, 16, v62
	v_lshrrev_b32_e32 v118, 16, v63
	s_wait_dscnt 0x4
	v_lshrrev_b32_e32 v120, 16, v78
	v_lshrrev_b32_e32 v122, 16, v79
	;; [unrolled: 3-line block ×5, first 2 shown]
	v_mul_f16_e32 v117, v62, v104
	v_mul_f16_e32 v119, v63, v105
	s_wait_dscnt 0x0
	v_lshrrev_b32_e32 v136, 16, v86
	v_lshrrev_b32_e32 v138, 16, v87
	v_mul_f16_e32 v104, v116, v104
	v_mul_f16_e32 v105, v118, v105
	;; [unrolled: 1-line block ×10, first 2 shown]
	v_mul_f16_e64 v129, v82, v110
	v_mul_f16_e64 v131, v83, v111
	;; [unrolled: 1-line block ×10, first 2 shown]
	v_fmac_f16_e32 v117, v116, v64
	v_fmac_f16_e32 v119, v118, v88
	v_mul_f16_e64 v114, v136, v114
	v_mul_f16_e64 v115, v138, v115
	v_fma_f16 v62, v62, v64, -v104
	v_fma_f16 v63, v63, v88, -v105
	v_fmac_f16_e32 v121, v120, v89
	v_fmac_f16_e32 v123, v122, v90
	v_fma_f16 v64, v78, v89, -v106
	v_fma_f16 v78, v79, v90, -v107
	v_fmac_f16_e32 v125, v124, v91
	v_fmac_f16_e32 v127, v126, v92
	v_fma_f16 v79, v80, v91, -v108
	v_fma_f16 v80, v81, v92, -v109
	v_fmac_f16_e64 v129, v128, v93
	v_fmac_f16_e64 v131, v130, v94
	v_fma_f16 v81, v82, v93, -v110
	v_fma_f16 v82, v83, v94, -v111
	v_fmac_f16_e64 v133, v132, v95
	v_fmac_f16_e64 v135, v134, v96
	;; [unrolled: 4-line block ×3, first 2 shown]
	v_fma_f16 v85, v86, v97, -v114
	v_fma_f16 v86, v87, v98, -v115
	v_pack_b32_f16 v62, v62, v117
	v_pack_b32_f16 v63, v63, v119
	;; [unrolled: 1-line block ×12, first 2 shown]
	ds_store_2addr_b32 v99, v62, v63 offset0:15 offset1:158
	ds_store_2addr_b32 v100, v64, v78 offset0:45 offset1:188
	;; [unrolled: 1-line block ×6, first 2 shown]
.LBB0_13:
	s_wait_alu 0xfffe
	s_or_b32 exec_lo, exec_lo, s2
	global_wb scope:SCOPE_SE
	s_wait_dscnt 0x0
	s_barrier_signal -1
	s_barrier_wait -1
	global_inv scope:SCOPE_SE
	s_and_saveexec_b32 s0, vcc_lo
	s_cbranch_execz .LBB0_15
; %bb.14:
	v_add_nc_u32_e32 v23, 0x400, v36
	v_add_nc_u32_e32 v26, 0x800, v36
	;; [unrolled: 1-line block ×3, first 2 shown]
	ds_load_2addr_b32 v[24:25], v36 offset1:143
	ds_load_2addr_b32 v[28:29], v23 offset0:30 offset1:173
	v_add_nc_u32_e32 v23, 0x1100, v36
	ds_load_2addr_b32 v[32:33], v26 offset0:60 offset1:203
	v_add_nc_u32_e32 v26, 0x1600, v36
	ds_load_2addr_b32 v[34:35], v27 offset0:90 offset1:233
	ds_load_2addr_b32 v[30:31], v23 offset0:56 offset1:199
	;; [unrolled: 1-line block ×3, first 2 shown]
	ds_load_b32 v65, v36 offset:6864
	s_wait_dscnt 0x6
	v_lshrrev_b32_e32 v71, 16, v25
	s_wait_dscnt 0x5
	v_lshrrev_b32_e32 v69, 16, v28
	v_lshrrev_b32_e32 v72, 16, v29
	s_wait_dscnt 0x4
	v_lshrrev_b32_e32 v74, 16, v32
	;; [unrolled: 3-line block ×6, first 2 shown]
.LBB0_15:
	s_wait_alu 0xfffe
	s_or_b32 exec_lo, exec_lo, s0
	s_delay_alu instid0(VALU_DEP_1)
	v_sub_f16_e32 v102, v71, v66
	v_add_f16_e32 v78, v65, v25
	v_sub_f16_e32 v104, v69, v67
	v_add_f16_e32 v114, v66, v71
	v_add_f16_e32 v79, v27, v28
	v_mul_f16_e32 v94, 0xb770, v102
	v_sub_f16_e32 v84, v25, v65
	v_mul_f16_e32 v95, 0xba95, v104
	v_mul_f16_e32 v96, 0x3b15, v114
	;; [unrolled: 1-line block ×3, first 2 shown]
	v_fma_f16 v23, v78, 0x3b15, -v94
	v_add_f16_e32 v119, v67, v69
	v_fma_f16 v81, v79, 0x388b, -v95
	v_sub_f16_e32 v113, v72, v68
	v_lshrrev_b32_e32 v80, 16, v24
	v_add_f16_e32 v23, v23, v24
	v_fmamk_f16 v62, v84, 0xb770, v96
	v_mul_f16_e32 v99, 0x388b, v114
	v_fma_f16 v63, v78, 0x388b, -v103
	v_sub_f16_e32 v82, v28, v27
	v_mul_f16_e32 v98, 0x388b, v119
	v_add_f16_e32 v23, v81, v23
	v_mul_f16_e32 v108, 0xbb7b, v104
	v_add_f16_e32 v81, v26, v29
	;; [unrolled: 2-line block ×3, first 2 shown]
	v_add_f16_e32 v62, v62, v80
	v_fmamk_f16 v64, v84, 0xba95, v99
	v_add_f16_e32 v63, v63, v24
	v_fmamk_f16 v83, v82, 0xba95, v98
	v_mul_f16_e32 v107, 0xb5ac, v119
	v_fma_f16 v86, v79, 0xb5ac, -v108
	v_sub_f16_e32 v85, v29, v26
	v_fma_f16 v88, v81, 0x2fb7, -v97
	v_mul_f16_e32 v101, 0x2fb7, v123
	v_add_f16_e32 v125, v70, v74
	v_add_f16_e32 v64, v64, v80
	v_fmamk_f16 v87, v82, 0xbb7b, v107
	v_add_f16_e32 v62, v83, v62
	v_add_f16_e32 v63, v86, v63
	v_add_f16_e32 v23, v88, v23
	v_fmamk_f16 v86, v85, 0xbbf1, v101
	v_sub_f16_e32 v120, v74, v70
	v_mul_f16_e32 v110, 0xb3a8, v113
	v_sub_f16_e32 v88, v32, v31
	v_mul_f16_e32 v105, 0xb5ac, v125
	v_add_f16_e32 v64, v87, v64
	v_mul_f16_e32 v111, 0xbbc4, v123
	v_add_f16_e32 v83, v31, v32
	v_mul_f16_e32 v100, 0xbb7b, v120
	v_fma_f16 v87, v81, 0xbbc4, -v110
	v_add_f16_e32 v62, v86, v62
	v_fmamk_f16 v86, v88, 0xbb7b, v105
	v_mul_f16_e32 v115, 0x394e, v120
	v_sub_f16_e32 v124, v75, v73
	v_add_f16_e32 v127, v73, v75
	v_fmamk_f16 v89, v85, 0xb3a8, v111
	v_fma_f16 v90, v83, 0xb5ac, -v100
	v_add_f16_e32 v63, v87, v63
	v_add_f16_e32 v62, v86, v62
	v_mul_f16_e32 v118, 0xb9fd, v125
	v_fma_f16 v87, v83, 0xb9fd, -v115
	v_add_f16_e32 v86, v30, v33
	v_mul_f16_e32 v106, 0xb94e, v124
	v_sub_f16_e32 v91, v33, v30
	v_mul_f16_e32 v112, 0xb9fd, v127
	v_mul_f16_e32 v117, 0x3bf1, v124
	v_add_f16_e32 v64, v89, v64
	v_add_f16_e32 v23, v90, v23
	v_fmamk_f16 v89, v88, 0x394e, v118
	v_fma_f16 v90, v86, 0xb9fd, -v106
	v_add_f16_e32 v63, v87, v63
	v_fmamk_f16 v87, v91, 0xb94e, v112
	v_fma_f16 v92, v86, 0x2fb7, -v117
	v_mul_f16_e32 v122, 0x2fb7, v127
	v_sub_f16_e32 v126, v77, v76
	v_add_f16_e64 v128, v76, v77
	v_add_f16_e32 v64, v89, v64
	v_add_f16_e32 v23, v90, v23
	v_add_f16_e32 v62, v87, v62
	v_add_f16_e32 v92, v92, v63
	v_fmamk_f16 v63, v91, 0x3bf1, v122
	v_add_f16_e32 v87, v35, v34
	v_sub_f16_e32 v90, v34, v35
	v_mul_f16_e32 v109, 0xb3a8, v126
	v_mul_f16_e64 v116, 0xbbc4, v128
	v_mul_f16_e32 v121, 0x3770, v126
	v_mul_f16_e64 v89, 0x3b15, v128
	v_add_f16_e32 v93, v63, v64
	v_fma_f16 v63, v87, 0xbbc4, -v109
	v_fmamk_f16 v64, v90, 0xb3a8, v116
	v_fma_f16 v129, v87, 0x3b15, -v121
	v_fma_f16 v130, 0x3770, v90, v89
	global_wb scope:SCOPE_SE
	v_add_f16_e32 v63, v63, v23
	v_add_f16_e32 v64, v64, v62
	v_add_f16_e64 v23, v129, v92
	v_add_f16_e64 v62, v130, v93
	s_barrier_signal -1
	s_barrier_wait -1
	global_inv scope:SCOPE_SE
	s_and_saveexec_b32 s0, vcc_lo
	s_cbranch_execz .LBB0_17
; %bb.16:
	v_mul_f16_e64 v134, 0xbbc4, v114
	v_mul_f16_e64 v139, 0x3b15, v119
	;; [unrolled: 1-line block ×5, first 2 shown]
	v_fma_f16 v93, 0x33a8, v84, v134
	v_fma_f16 v143, 0xb770, v82, v139
	v_mul_f16_e64 v156, 0x2fb7, v128
	v_mul_f16_e64 v160, 0xb9fd, v114
	v_mul_f16_e64 v164, 0x2fb7, v119
	v_add_f16_e32 v93, v93, v80
	v_mul_f16_e64 v131, 0x388b, v78
	v_mul_f16_e64 v168, 0x388b, v123
	;; [unrolled: 1-line block ×3, first 2 shown]
	v_fma_f16 v167, 0xbbf1, v82, v164
	v_add_f16_e64 v93, v143, v93
	v_fma_f16 v143, 0x394e, v85, v144
	v_mul_f16_e64 v136, 0xb5ac, v79
	v_add_f16_e64 v103, v131, v103
	v_mul_f16_e64 v170, 0xbbc4, v125
	v_mul_f16_e64 v129, 0x3b15, v78
	v_add_f16_e64 v93, v143, v93
	v_fma_f16 v143, 0xba95, v88, v148
	v_mul_f16_e64 v135, 0xba95, v82
	v_mul_f16_e64 v141, 0xbbc4, v81
	v_add_f16_e32 v103, v103, v24
	v_add_f16_e64 v108, v136, v108
	v_add_f16_e64 v93, v143, v93
	v_fma_f16 v143, 0x3b7b, v91, v152
	v_sub_f16_e64 v96, v96, v130
	v_mul_f16_e64 v172, 0x3b15, v127
	v_mul_f16_e64 v133, 0x388b, v79
	;; [unrolled: 1-line block ×3, first 2 shown]
	v_add_f16_e64 v93, v143, v93
	v_fma_f16 v143, 0xbbf1, v90, v156
	v_mul_f16_e64 v147, 0xb9fd, v83
	v_add_f16_e32 v103, v108, v103
	v_add_f16_e64 v108, v141, v110
	v_add_f16_e32 v96, v96, v80
	v_add_f16_e64 v93, v143, v93
	v_fma_f16 v143, 0x394e, v84, v160
	v_sub_f16_e64 v98, v98, v135
	v_add_f16_e64 v94, v129, v94
	v_mul_f16_e64 v159, 0xb3a8, v102
	v_mul_f16_e64 v174, 0xb5ac, v128
	v_add_f16_e64 v143, v143, v80
	v_mul_f16_e64 v138, 0x2fb7, v81
	v_mul_f16_e64 v146, 0xbb7b, v88
	v_mul_f16_e64 v153, 0x2fb7, v86
	v_add_f16_e32 v103, v108, v103
	v_add_f16_e64 v143, v167, v143
	v_fma_f16 v167, 0x3a95, v85, v168
	v_add_f16_e64 v108, v147, v115
	v_add_f16_e32 v96, v98, v96
	v_sub_f16_e64 v98, v101, v140
	v_add_f16_e32 v94, v94, v24
	v_add_f16_e64 v143, v167, v143
	v_fma_f16 v167, 0xb3a8, v88, v170
	v_add_f16_e64 v95, v133, v95
	v_fma_f16 v162, 0xbbc4, v78, v159
	v_mul_f16_e64 v163, 0x3770, v104
	v_mul_f16_e64 v176, 0xb5ac, v114
	v_add_f16_e64 v143, v167, v143
	v_fma_f16 v167, 0xb770, v91, v172
	v_mul_f16_e64 v145, 0xb5ac, v83
	v_mul_f16_e64 v151, 0xb94e, v91
	;; [unrolled: 1-line block ×3, first 2 shown]
	v_add_f16_e32 v101, v108, v103
	v_add_f16_e64 v143, v167, v143
	v_fma_f16 v167, 0x3b7b, v90, v174
	v_add_f16_e64 v103, v153, v117
	v_add_f16_e32 v96, v98, v96
	v_sub_f16_e64 v98, v105, v146
	v_add_f16_e32 v94, v95, v94
	v_add_f16_e64 v95, v138, v97
	v_add_f16_e64 v162, v162, v24
	v_fma_f16 v165, 0x3b15, v79, v163
	v_mul_f16_e64 v166, 0xb94e, v113
	v_add_f16_e64 v143, v167, v143
	v_fma_f16 v167, 0x3b7b, v84, v176
	v_mul_f16_e64 v178, 0xb9fd, v119
	v_mul_f16_e64 v150, 0xb9fd, v86
	v_mul_f16_e64 v157, 0xb3a8, v90
	v_add_f16_e32 v101, v103, v101
	v_add_f16_e64 v103, v158, v121
	v_add_f16_e32 v96, v98, v96
	v_sub_f16_e64 v97, v112, v151
	v_add_f16_e32 v94, v95, v94
	v_add_f16_e64 v95, v145, v100
	v_add_f16_e64 v162, v165, v162
	v_fma_f16 v165, 0xb9fd, v81, v166
	v_mul_f16_e64 v169, 0x3a95, v120
	v_add_f16_e64 v167, v167, v80
	v_fma_f16 v181, 0xb94e, v82, v178
	v_mul_f16_e64 v182, 0x3b15, v123
	v_add_f16_e32 v98, v103, v101
	v_add_f16_e32 v96, v97, v96
	v_sub_f16_e64 v100, v116, v157
	v_add_f16_e32 v94, v95, v94
	v_add_f16_e64 v95, v150, v106
	v_fma_f16 v101, v78, 0xbbc4, -v159
	v_add_f16_e64 v162, v165, v162
	v_fma_f16 v165, 0x388b, v83, v169
	v_mul_f16_e64 v171, 0xbb7b, v124
	v_add_f16_e64 v167, v181, v167
	v_fma_f16 v181, 0xb770, v85, v182
	v_mul_f16_e64 v184, 0x2fb7, v125
	v_add_f16_e32 v96, v100, v96
	v_add_f16_e32 v94, v95, v94
	;; [unrolled: 1-line block ×3, first 2 shown]
	v_fma_f16 v100, v79, 0x3b15, -v163
	v_add_f16_e64 v162, v165, v162
	v_fma_f16 v165, 0xb5ac, v86, v171
	v_mul_f16_e64 v173, 0x3bf1, v126
	v_add_f16_e64 v167, v181, v167
	v_fma_f16 v181, 0x3bf1, v88, v184
	v_mul_f16_e64 v186, 0xbbc4, v127
	v_add_f16_e32 v95, v100, v95
	v_fma_f16 v100, v81, 0xb9fd, -v166
	v_add_f16_e64 v162, v165, v162
	v_fma_f16 v165, 0x2fb7, v87, v173
	v_mul_f16_e64 v175, 0xb94e, v102
	v_add_f16_e64 v167, v181, v167
	v_fma_f16 v181, 0xb3a8, v91, v186
	v_mul_f16_e64 v188, 0xbb7b, v102
	v_mul_f16_e32 v114, 0x2fb7, v114
	v_add_f16_e32 v95, v100, v95
	v_fma_f16 v100, v83, 0x388b, -v169
	v_add_f16_e64 v162, v165, v162
	v_fma_f16 v165, 0xb9fd, v78, v175
	v_mul_f16_e64 v177, 0x3bf1, v104
	v_add_f16_e64 v167, v181, v167
	v_fma_f16 v181, 0xb5ac, v78, v188
	v_mul_f16_e64 v189, 0x394e, v104
	v_fma_f16 v191, 0x3bf1, v84, v114
	v_mul_f16_e32 v119, 0xbbc4, v119
	v_add_f16_e32 v95, v100, v95
	v_fma_f16 v100, v86, 0xb5ac, -v171
	v_add_f16_e32 v71, v71, v80
	v_add_f16_e32 v25, v25, v24
	v_add_f16_e64 v165, v165, v24
	v_fma_f16 v179, 0x2fb7, v79, v177
	v_mul_f16_e64 v180, 0xba95, v113
	v_add_f16_e64 v181, v181, v24
	v_fma_f16 v192, 0xb9fd, v79, v189
	v_mul_f16_e64 v193, 0x3770, v113
	v_add_f16_e64 v191, v191, v80
	v_fma_f16 v194, 0x33a8, v82, v119
	v_mul_f16_e32 v123, 0xb5ac, v123
	v_add_f16_e32 v95, v100, v95
	v_fma_f16 v100, v78, 0xb9fd, -v175
	v_fmac_f16_e64 v176, 0xbb7b, v84
	v_add_f16_e32 v69, v69, v71
	v_add_f16_e32 v25, v28, v25
	v_add_f16_e64 v165, v179, v165
	v_fma_f16 v179, 0x388b, v81, v180
	v_mul_f16_e64 v183, 0x33a8, v120
	v_add_f16_e64 v181, v192, v181
	v_fma_f16 v192, 0x3b15, v81, v193
	v_mul_f16_e64 v195, 0xbbf1, v120
	v_add_f16_e64 v191, v194, v191
	v_fma_f16 v194, 0xbb7b, v85, v123
	v_mul_f16_e32 v125, 0x3b15, v125
	v_mul_f16_e32 v102, 0xbbf1, v102
	v_add_f16_e32 v100, v100, v24
	v_fma_f16 v105, v79, 0x2fb7, -v177
	v_add_f16_e64 v106, v176, v80
	v_fmac_f16_e64 v178, 0x394e, v82
	v_add_f16_e32 v69, v72, v69
	v_add_f16_e32 v25, v29, v25
	v_add_f16_e64 v165, v179, v165
	v_fma_f16 v179, 0xbbc4, v83, v183
	v_mul_f16_e64 v185, 0x3770, v124
	v_add_f16_e64 v181, v192, v181
	v_fma_f16 v192, 0x2fb7, v83, v195
	v_mul_f16_e64 v196, 0x33a8, v124
	v_add_f16_e64 v191, v194, v191
	v_fma_f16 v194, 0xb770, v88, v125
	v_mul_f16_e32 v127, 0x388b, v127
	v_fmac_f16_e64 v160, 0xb94e, v84
	v_add_f16_e32 v100, v105, v100
	v_add_f16_e64 v105, v178, v106
	v_fma_f16 v106, v78, 0xb5ac, -v188
	v_fma_f16 v29, v78, 0x2fb7, -v102
	v_add_f16_e32 v69, v74, v69
	v_add_f16_e32 v25, v32, v25
	v_add_f16_e64 v165, v179, v165
	v_fma_f16 v179, 0x3b15, v86, v185
	v_mul_f16_e64 v187, 0xbb7b, v126
	v_mul_f16_e64 v190, 0x388b, v128
	v_add_f16_e64 v181, v192, v181
	v_fma_f16 v192, 0xbbc4, v86, v196
	v_mul_f16_e64 v197, 0x3a95, v126
	v_add_f16_e64 v191, v194, v191
	v_fma_f16 v194, 0x3a95, v91, v127
	v_mul_f16_e64 v128, 0xb9fd, v128
	v_mul_f16_e64 v155, 0xbbc4, v87
	v_add_f16_e64 v103, v160, v80
	v_fmac_f16_e64 v164, 0x3bf1, v82
	v_alignbit_b32 v92, v24, v24, 16
	v_add_f16_e32 v106, v106, v24
	v_add_f16_e32 v24, v29, v24
	;; [unrolled: 1-line block ×4, first 2 shown]
	v_mul_f16_e64 v132, 0xba95, v84
	v_add_f16_e64 v165, v179, v165
	v_fma_f16 v179, 0xb5ac, v87, v187
	v_add_f16_e64 v181, v192, v181
	v_fma_f16 v192, 0x388b, v87, v197
	;; [unrolled: 2-line block ×3, first 2 shown]
	v_mul_f16_e32 v104, 0xb3a8, v104
	v_add_f16_e64 v101, v155, v109
	v_add_f16_e64 v103, v164, v103
	v_fmac_f16_e64 v168, 0xba95, v85
	v_add_f16_e32 v29, v77, v29
	v_add_f16_e32 v25, v34, v25
	v_mul_f16_e64 v137, 0xbb7b, v82
	v_add_f16_e64 v165, v179, v165
	v_add_f16_e64 v179, v192, v181
	;; [unrolled: 1-line block ×3, first 2 shown]
	v_fma_f16 v191, 0x2fb7, v78, v102
	v_mul_f16_e32 v113, 0x3b7b, v113
	v_sub_f16_e64 v99, v99, v132
	v_fma_f16 v33, v79, 0xbbc4, -v104
	v_add_f16_e32 v94, v101, v94
	v_add_f16_e64 v101, v168, v103
	v_fma_f16 v103, v87, 0x2fb7, -v173
	v_add_f16_e32 v29, v76, v29
	v_add_f16_e32 v25, v35, v25
	v_mul_f16_e64 v142, 0xb3a8, v85
	v_mul_f16_e32 v120, 0x3770, v120
	v_fma_f16 v192, 0xbbc4, v79, v104
	v_sub_f16_e64 v107, v107, v137
	v_add_f16_e32 v24, v33, v24
	v_fma_f16 v33, v81, 0xb5ac, -v113
	v_pack_b32_f16 v34, v99, v191
	v_fmac_f16_e64 v134, 0xb3a8, v84
	v_add_f16_e32 v95, v103, v95
	v_fma_f16 v103, v81, 0x388b, -v180
	v_fmac_f16_e64 v182, 0x3770, v85
	v_fmac_f16_e32 v114, 0xbbf1, v84
	v_add_f16_e32 v29, v73, v29
	v_add_f16_e32 v25, v30, v25
	v_mul_f16_e64 v149, 0x394e, v88
	v_mul_f16_e32 v124, 0xba95, v124
	v_fma_f16 v131, 0xb5ac, v81, v113
	v_sub_f16_e64 v110, v111, v142
	v_add_f16_e32 v24, v33, v24
	v_fma_f16 v33, v83, 0x3b15, -v120
	v_pk_add_f16 v30, v34, v92
	v_pack_b32_f16 v34, v107, v192
	v_add_f16_e64 v97, v134, v80
	v_fmac_f16_e64 v139, 0x3770, v82
	v_add_f16_e32 v100, v103, v100
	v_fma_f16 v103, v83, 0xbbc4, -v183
	v_add_f16_e64 v105, v182, v105
	v_fmac_f16_e64 v184, 0xbbf1, v88
	v_fma_f16 v108, v79, 0xb9fd, -v189
	v_add_f16_e32 v80, v114, v80
	v_fmac_f16_e32 v119, 0xb3a8, v82
	v_add_f16_e32 v29, v70, v29
	v_add_f16_e32 v25, v31, v25
	v_mul_f16_e64 v154, 0x3bf1, v91
	v_fma_f16 v198, 0xba95, v90, v190
	v_fma_f16 v194, 0x3b15, v83, v120
	v_mul_f16_e64 v199, 0xb9fd, v87
	v_mul_f16_e32 v126, 0xb94e, v126
	v_sub_f16_e64 v111, v118, v149
	v_add_f16_e32 v24, v33, v24
	v_fma_f16 v33, v86, 0x388b, -v124
	v_pk_add_f16 v30, v34, v30
	v_pack_b32_f16 v31, v110, v131
	v_add_f16_e64 v97, v139, v97
	v_fmac_f16_e64 v144, 0xb94e, v85
	v_add_f16_e32 v100, v103, v100
	v_fma_f16 v103, v86, 0x3b15, -v185
	v_add_f16_e64 v105, v184, v105
	v_fmac_f16_e64 v186, 0x33a8, v91
	v_add_f16_e32 v106, v108, v106
	v_fma_f16 v108, v81, 0x3b15, -v193
	v_add_f16_e32 v80, v119, v80
	v_fmac_f16_e32 v123, 0x3b7b, v85
	v_add_f16_e32 v29, v68, v29
	v_add_f16_e32 v25, v26, v25
	v_mul_f16_e64 v161, 0x3770, v90
	v_add_f16_e64 v167, v198, v167
	v_fma_f16 v198, 0x388b, v86, v124
	v_sub_f16_e64 v115, v122, v154
	v_add_f16_e32 v24, v33, v24
	v_pk_add_f16 v26, v31, v30
	v_pack_b32_f16 v30, v111, v194
	v_lshlrev_b32_e32 v31, 16, v199
	v_lshlrev_b32_e32 v33, 16, v126
	v_add_f16_e64 v97, v144, v97
	v_fmac_f16_e64 v148, 0x3a95, v88
	v_fmac_f16_e64 v170, 0x33a8, v88
	v_add_f16_e32 v100, v103, v100
	v_fma_f16 v103, v87, 0xb5ac, -v187
	v_add_f16_e64 v105, v186, v105
	v_fmac_f16_e64 v190, 0x3a95, v90
	v_add_f16_e32 v106, v108, v106
	v_fma_f16 v108, v83, 0x2fb7, -v195
	v_add_f16_e32 v32, v123, v80
	v_fmac_f16_e32 v125, 0x3770, v88
	v_add_f16_e32 v29, v67, v29
	v_add_f16_e32 v25, v27, v25
	v_pk_add_f16 v26, v30, v26
	v_pack_b32_f16 v27, v115, v198
	v_pk_add_f16 v30, v89, v161 neg_lo:[0,1] neg_hi:[0,1]
	v_pk_add_f16 v31, v31, v33
	v_add_f16_e64 v97, v148, v97
	v_fmac_f16_e64 v152, 0xbb7b, v91
	v_add_f16_e64 v101, v170, v101
	v_fmac_f16_e64 v172, 0x3770, v91
	v_add_f16_e32 v100, v103, v100
	v_add_f16_e64 v103, v190, v105
	v_add_f16_e32 v84, v108, v106
	v_fma_f16 v105, v86, 0xbbc4, -v196
	v_add_f16_e32 v32, v125, v32
	v_fmac_f16_e32 v127, 0xba95, v91
	v_add_f16_e32 v29, v66, v29
	v_add_f16_e32 v25, v65, v25
	v_pk_add_f16 v26, v27, v26
	v_bfi_b32 v27, 0xffff, v30, v31
	v_add_f16_e64 v97, v152, v97
	v_fmac_f16_e64 v156, 0x3bf1, v90
	v_add_f16_e64 v101, v172, v101
	v_fmac_f16_e64 v174, 0xbb7b, v90
	v_add_f16_e32 v28, v105, v84
	v_fma_f16 v71, v87, 0x388b, -v197
	v_add_f16_e32 v32, v127, v32
	v_fmac_f16_e64 v128, 0xb94e, v90
	v_fma_f16 v33, v87, 0xb9fd, -v126
	v_lshlrev_b32_e32 v29, 16, v29
	v_and_b32_e32 v25, 0xffff, v25
	v_and_b32_e32 v30, 0xffff, v38
	v_pk_add_f16 v26, v27, v26
	v_add_f16_e64 v97, v156, v97
	v_add_f16_e64 v101, v174, v101
	v_add_f16_e32 v28, v71, v28
	v_add_f16_e64 v31, v128, v32
	v_add_f16_e32 v24, v33, v24
	v_or_b32_e32 v25, v29, v25
	v_lshlrev_b32_e32 v27, 2, v30
	v_pack_b32_f16 v29, v94, v96
	v_alignbit_b32 v30, v181, v26, 16
	v_pack_b32_f16 v26, v98, v26
	v_pack_b32_f16 v32, v165, v143
	v_pack_b32_f16 v33, v179, v167
	v_pack_b32_f16 v34, v95, v97
	v_pack_b32_f16 v35, v162, v93
	v_pack_b32_f16 v28, v28, v103
	v_pack_b32_f16 v38, v100, v101
	v_pack_b32_f16 v24, v24, v31
	v_perm_b32 v31, v62, v23, 0x5040100
	v_perm_b32 v65, v64, v63, 0x5040100
	ds_store_2addr_b32 v27, v25, v29 offset1:1
	ds_store_2addr_b32 v27, v26, v30 offset0:2 offset1:3
	ds_store_2addr_b32 v27, v33, v32 offset0:4 offset1:5
	;; [unrolled: 1-line block ×5, first 2 shown]
	ds_store_b32 v27, v65 offset:48
.LBB0_17:
	s_wait_alu 0xfffe
	s_or_b32 exec_lo, exec_lo, s0
	v_add_nc_u32_e32 v26, 0x400, v36
	global_wb scope:SCOPE_SE
	s_wait_dscnt 0x0
	s_barrier_signal -1
	s_barrier_wait -1
	global_inv scope:SCOPE_SE
	ds_load_2addr_b32 v[24:25], v36 offset1:169
	ds_load_2addr_b32 v[27:28], v26 offset0:82 offset1:251
	v_add_nc_u32_e32 v29, 0xa00, v36
	v_add_nc_u32_e32 v31, 0xf00, v36
	;; [unrolled: 1-line block ×3, first 2 shown]
	ds_load_b32 v35, v36 offset:6760
	ds_load_2addr_b32 v[29:30], v29 offset0:36 offset1:205
	ds_load_2addr_b32 v[31:32], v31 offset0:54 offset1:223
	;; [unrolled: 1-line block ×3, first 2 shown]
	global_wb scope:SCOPE_SE
	s_wait_dscnt 0x0
	s_barrier_signal -1
	s_barrier_wait -1
	global_inv scope:SCOPE_SE
	v_lshrrev_b32_e32 v38, 16, v25
	v_mul_f16_e32 v66, v61, v25
	v_lshrrev_b32_e32 v67, 16, v27
	v_lshrrev_b32_e32 v68, 16, v28
	v_mul_f16_e32 v75, v60, v28
	v_lshrrev_b32_e32 v69, 16, v29
	v_mul_f16_e32 v61, v61, v38
	v_fma_f16 v38, v4, v38, -v66
	v_mul_f16_e32 v66, v59, v27
	v_mul_f16_e32 v59, v59, v67
	v_lshrrev_b32_e32 v70, 16, v30
	v_mul_f16_e32 v60, v60, v68
	v_fmac_f16_e32 v61, v4, v25
	v_fma_f16 v4, v5, v67, -v66
	v_mul_f16_e32 v25, v58, v69
	v_fmac_f16_e32 v59, v5, v27
	v_mul_f16_e32 v5, v58, v29
	v_lshrrev_b32_e32 v27, 16, v24
	v_fmac_f16_e32 v60, v6, v28
	v_mul_f16_e32 v28, v57, v70
	v_fmac_f16_e32 v25, v7, v29
	v_fma_f16 v5, v7, v69, -v5
	v_add_f16_e32 v7, v38, v27
	v_add_f16_e32 v29, v61, v24
	v_fma_f16 v6, v6, v68, -v75
	v_fmac_f16_e32 v28, v0, v30
	v_mul_f16_e32 v30, v57, v30
	v_add_f16_e32 v7, v7, v4
	v_add_f16_e32 v29, v29, v59
	v_lshrrev_b32_e32 v71, 16, v31
	v_lshrrev_b32_e32 v72, 16, v32
	v_fma_f16 v30, v0, v70, -v30
	v_add_f16_e32 v0, v7, v6
	v_add_f16_e32 v7, v29, v60
	v_mul_f16_e32 v57, v56, v71
	v_mul_f16_e32 v56, v56, v31
	v_lshrrev_b32_e32 v73, 16, v33
	v_add_f16_e32 v0, v0, v5
	v_add_f16_e32 v7, v7, v25
	v_fmac_f16_e32 v57, v1, v31
	v_fma_f16 v1, v1, v71, -v56
	v_mul_f16_e32 v29, v55, v72
	v_mul_f16_e32 v31, v55, v32
	v_add_f16_e32 v0, v0, v30
	v_add_f16_e32 v7, v7, v28
	v_lshrrev_b32_e32 v74, 16, v34
	v_mul_f16_e32 v55, v54, v73
	v_fmac_f16_e32 v29, v2, v32
	v_fma_f16 v2, v2, v72, -v31
	v_mul_f16_e32 v31, v54, v33
	v_add_f16_e32 v0, v0, v1
	v_add_f16_e32 v7, v7, v57
	v_lshrrev_b32_e32 v65, 16, v35
	v_fmac_f16_e32 v55, v3, v33
	v_mul_f16_e32 v32, v53, v74
	v_mul_f16_e32 v33, v53, v34
	v_fma_f16 v3, v3, v73, -v31
	v_add_f16_e32 v0, v0, v2
	v_add_f16_e32 v7, v7, v29
	v_fmac_f16_e32 v32, v21, v34
	v_fma_f16 v21, v21, v74, -v33
	v_mul_f16_e32 v31, v52, v65
	v_mul_f16_e32 v33, v52, v35
	v_add_f16_e32 v0, v0, v3
	v_add_f16_e32 v7, v7, v55
	v_sub_f16_e32 v73, v4, v21
	v_fmac_f16_e32 v31, v22, v35
	v_fma_f16 v22, v22, v65, -v33
	v_add_f16_e32 v0, v0, v21
	v_add_f16_e32 v7, v7, v32
	;; [unrolled: 1-line block ×4, first 2 shown]
	v_sub_f16_e32 v33, v38, v22
	v_add_f16_e32 v0, v0, v22
	v_add_f16_e32 v7, v7, v31
	v_add_f16_e32 v22, v38, v22
	v_sub_f16_e32 v31, v61, v31
	v_mul_f16_e32 v35, 0xb853, v33
	v_lshlrev_b32_e32 v0, 16, v0
	v_and_b32_e32 v7, 0xffff, v7
	v_mul_f16_e32 v38, 0x3abb, v22
	v_mul_f16_e32 v56, 0x36a6, v22
	;; [unrolled: 1-line block ×4, first 2 shown]
	v_or_b32_e32 v0, v0, v7
	v_mul_f16_e32 v7, 0xbb47, v33
	v_mul_f16_e32 v68, 0xba0c, v33
	;; [unrolled: 1-line block ×5, first 2 shown]
	v_fmamk_f16 v52, v34, 0x3abb, v35
	v_fmamk_f16 v53, v31, 0x3853, v38
	v_fma_f16 v35, v34, 0x3abb, -v35
	v_fmac_f16_e32 v38, 0xb853, v31
	v_fmamk_f16 v54, v34, 0x36a6, v7
	v_fmamk_f16 v61, v31, 0x3b47, v56
	v_fma_f16 v7, v34, 0x36a6, -v7
	v_fmac_f16_e32 v56, 0xbb47, v31
	;; [unrolled: 4-line block ×4, first 2 shown]
	v_fmamk_f16 v72, v34, 0xbbad, v33
	v_fmamk_f16 v74, v31, 0x3482, v22
	v_fma_f16 v33, v34, 0xbbad, -v33
	v_add_f16_e32 v21, v59, v32
	v_mul_f16_e32 v34, 0xbb47, v73
	v_fmac_f16_e32 v22, 0xb482, v31
	v_sub_f16_e32 v31, v59, v32
	v_mul_f16_e32 v32, 0x36a6, v4
	v_add_f16_e32 v52, v52, v24
	v_add_f16_e32 v53, v53, v27
	;; [unrolled: 1-line block ×18, first 2 shown]
	v_fmamk_f16 v74, v21, 0x36a6, v34
	v_add_f16_e32 v24, v33, v24
	v_add_f16_e32 v22, v22, v27
	v_fmamk_f16 v27, v31, 0x3b47, v32
	v_mul_f16_e32 v33, 0xba0c, v73
	v_add_f16_e32 v52, v74, v52
	v_fma_f16 v34, v21, 0x36a6, -v34
	v_fmac_f16_e32 v32, 0xbb47, v31
	v_add_f16_e32 v27, v27, v53
	v_fmamk_f16 v53, v21, 0xb93d, v33
	v_mul_f16_e32 v74, 0xb93d, v4
	v_add_f16_e32 v34, v34, v35
	v_add_f16_e32 v32, v32, v38
	v_mul_f16_e32 v35, 0x3482, v73
	v_add_f16_e32 v38, v53, v54
	v_fmamk_f16 v53, v31, 0x3a0c, v74
	v_fma_f16 v33, v21, 0xb93d, -v33
	v_fmac_f16_e32 v74, 0xba0c, v31
	v_mul_f16_e32 v75, 0xbbad, v4
	v_fmamk_f16 v54, v21, 0xbbad, v35
	v_add_f16_e32 v53, v53, v61
	v_add_f16_e32 v7, v33, v7
	;; [unrolled: 1-line block ×3, first 2 shown]
	v_fmamk_f16 v56, v31, 0xb482, v75
	v_mul_f16_e32 v61, 0x3beb, v73
	v_add_f16_e32 v54, v54, v66
	v_fma_f16 v35, v21, 0xbbad, -v35
	v_mul_f16_e32 v66, 0xb08e, v4
	v_add_f16_e32 v56, v56, v67
	v_fmamk_f16 v67, v21, 0xb08e, v61
	v_mul_f16_e32 v73, 0x3853, v73
	v_fma_f16 v61, v21, 0xb08e, -v61
	v_add_f16_e32 v35, v35, v58
	v_fmamk_f16 v58, v31, 0xbbeb, v66
	v_add_f16_e32 v67, v67, v70
	v_fmac_f16_e32 v66, 0x3beb, v31
	v_fmamk_f16 v70, v21, 0x3abb, v73
	v_add_f16_e32 v61, v61, v68
	v_sub_f16_e32 v68, v6, v3
	v_add_f16_e32 v58, v58, v71
	v_mul_f16_e32 v4, 0x3abb, v4
	v_add_f16_e32 v66, v66, v69
	v_add_f16_e32 v69, v70, v72
	;; [unrolled: 1-line block ×3, first 2 shown]
	v_mul_f16_e32 v72, 0xbbeb, v68
	v_add_f16_e32 v3, v6, v3
	v_fmac_f16_e32 v75, 0x3482, v31
	v_fmamk_f16 v70, v31, 0xb853, v4
	v_fma_f16 v6, v21, 0x3abb, -v73
	v_fmac_f16_e32 v4, 0x3853, v31
	v_sub_f16_e32 v21, v60, v55
	v_fmamk_f16 v31, v71, 0xb08e, v72
	v_mul_f16_e32 v55, 0xb08e, v3
	v_add_f16_e32 v6, v6, v24
	v_add_f16_e32 v4, v4, v22
	v_mul_f16_e32 v60, 0xbbad, v3
	v_add_f16_e32 v22, v31, v52
	v_fmamk_f16 v24, v21, 0x3beb, v55
	v_mul_f16_e32 v31, 0x3482, v68
	v_fma_f16 v52, v71, 0xb08e, -v72
	v_fmac_f16_e32 v55, 0xbbeb, v21
	v_add_f16_e32 v59, v70, v59
	v_add_f16_e32 v24, v24, v27
	v_fmamk_f16 v27, v71, 0xbbad, v31
	v_add_f16_e32 v34, v52, v34
	v_add_f16_e32 v32, v55, v32
	v_fmamk_f16 v52, v21, 0xb482, v60
	v_mul_f16_e32 v55, 0x3b47, v68
	v_add_f16_e32 v27, v27, v38
	v_fma_f16 v31, v71, 0xbbad, -v31
	v_fmac_f16_e32 v60, 0x3482, v21
	v_add_f16_e32 v38, v52, v53
	v_fmamk_f16 v52, v71, 0x36a6, v55
	v_mul_f16_e32 v53, 0x36a6, v3
	v_add_f16_e32 v7, v31, v7
	v_add_f16_e32 v31, v60, v33
	v_mul_f16_e32 v33, 0xb853, v68
	v_add_f16_e32 v52, v52, v54
	v_fmamk_f16 v54, v21, 0xbb47, v53
	v_mul_f16_e32 v70, 0x3abb, v3
	v_add_f16_e32 v65, v75, v65
	v_fmac_f16_e32 v53, 0x3b47, v21
	v_fmamk_f16 v60, v71, 0x3abb, v33
	v_add_f16_e32 v54, v54, v56
	v_fmamk_f16 v56, v21, 0x3853, v70
	v_mul_f16_e32 v3, 0xb93d, v3
	v_fma_f16 v33, v71, 0x3abb, -v33
	v_fmac_f16_e32 v70, 0xb853, v21
	v_fma_f16 v55, v71, 0x36a6, -v55
	v_add_f16_e32 v53, v53, v65
	v_fmamk_f16 v65, v21, 0x3a0c, v3
	v_add_f16_e32 v33, v33, v61
	v_add_f16_e32 v61, v70, v66
	v_sub_f16_e32 v66, v5, v2
	v_add_f16_e32 v35, v55, v35
	v_add_f16_e32 v55, v60, v67
	v_mul_f16_e32 v60, 0xba0c, v68
	v_add_f16_e32 v59, v65, v59
	v_add_f16_e32 v65, v25, v29
	;; [unrolled: 1-line block ×3, first 2 shown]
	v_mul_f16_e32 v5, 0xba0c, v66
	v_fmac_f16_e32 v3, 0xba0c, v21
	v_add_f16_e32 v56, v56, v58
	v_fmamk_f16 v58, v71, 0xb93d, v60
	v_fma_f16 v60, v71, 0xb93d, -v60
	v_sub_f16_e32 v21, v25, v29
	v_mul_f16_e32 v25, 0xb93d, v2
	v_fmamk_f16 v29, v65, 0xb93d, v5
	v_add_f16_e32 v3, v3, v4
	v_mul_f16_e32 v4, 0x3beb, v66
	v_add_f16_e32 v6, v60, v6
	v_fmamk_f16 v60, v21, 0x3a0c, v25
	v_add_f16_e32 v22, v29, v22
	v_fmac_f16_e32 v25, 0xba0c, v21
	v_fmamk_f16 v29, v65, 0xb08e, v4
	v_fma_f16 v5, v65, 0xb93d, -v5
	v_add_f16_e32 v24, v60, v24
	v_mul_f16_e32 v60, 0xb08e, v2
	v_add_f16_e32 v25, v25, v32
	v_add_f16_e32 v29, v29, v27
	v_mul_f16_e32 v27, 0xb853, v66
	v_add_f16_e32 v5, v5, v34
	v_fmamk_f16 v32, v21, 0xbbeb, v60
	v_fma_f16 v4, v65, 0xb08e, -v4
	v_fmac_f16_e32 v60, 0x3beb, v21
	v_fmamk_f16 v67, v65, 0x3abb, v27
	v_mul_f16_e32 v34, 0x3abb, v2
	v_add_f16_e32 v32, v32, v38
	v_fma_f16 v27, v65, 0x3abb, -v27
	v_add_f16_e32 v4, v4, v7
	v_add_f16_e32 v38, v67, v52
	v_mul_f16_e32 v52, 0xb482, v66
	v_add_f16_e32 v7, v60, v31
	v_fmamk_f16 v31, v21, 0x3853, v34
	v_add_f16_e32 v35, v27, v35
	v_mul_f16_e32 v27, 0x3b47, v66
	v_fmamk_f16 v60, v65, 0xbbad, v52
	v_add_f16_e32 v58, v58, v69
	v_fmac_f16_e32 v34, 0xb853, v21
	v_add_f16_e32 v54, v31, v54
	v_mul_f16_e32 v31, 0xbbad, v2
	v_add_f16_e32 v55, v60, v55
	v_fmamk_f16 v60, v65, 0x36a6, v27
	v_add_f16_e32 v53, v34, v53
	v_mul_f16_e32 v2, 0x36a6, v2
	v_fmamk_f16 v34, v21, 0x3482, v31
	v_fmac_f16_e32 v31, 0xb482, v21
	v_add_f16_e32 v58, v60, v58
	v_sub_f16_e32 v60, v30, v1
	v_add_f16_e32 v30, v30, v1
	v_fma_f16 v52, v65, 0xbbad, -v52
	v_add_f16_e32 v61, v31, v61
	v_fmamk_f16 v31, v21, 0xbb47, v2
	v_fma_f16 v27, v65, 0x36a6, -v27
	v_add_f16_e32 v65, v28, v57
	v_fmac_f16_e32 v2, 0x3b47, v21
	v_sub_f16_e32 v21, v28, v57
	v_mul_f16_e32 v28, 0xbbad, v30
	v_add_f16_e32 v56, v34, v56
	v_add_f16_e32 v52, v52, v33
	;; [unrolled: 1-line block ×3, first 2 shown]
	v_mul_f16_e32 v3, 0x3853, v60
	v_fmamk_f16 v2, v21, 0x3482, v28
	v_mul_f16_e32 v33, 0xb482, v60
	v_add_f16_e32 v57, v31, v59
	v_add_f16_e32 v59, v27, v6
	v_fmac_f16_e32 v28, 0xb482, v21
	v_add_f16_e32 v27, v2, v24
	v_fmamk_f16 v2, v65, 0x3abb, v3
	v_mul_f16_e32 v34, 0x3abb, v30
	v_fmamk_f16 v1, v65, 0xbbad, v33
	v_fma_f16 v6, v65, 0xbbad, -v33
	v_add_f16_e32 v33, v28, v25
	v_add_f16_e32 v24, v2, v29
	v_fmamk_f16 v2, v21, 0xb853, v34
	v_fma_f16 v3, v65, 0x3abb, -v3
	v_mul_f16_e32 v28, 0xb93d, v30
	v_add_f16_e32 v1, v1, v22
	v_add_f16_e32 v22, v6, v5
	v_mul_f16_e32 v6, 0xba0c, v60
	v_fmac_f16_e32 v34, 0x3853, v21
	v_add_f16_e32 v31, v2, v32
	v_add_f16_e32 v5, v3, v4
	v_fmamk_f16 v2, v21, 0x3a0c, v28
	v_mul_f16_e32 v3, 0x3b47, v60
	v_add_f16_e32 v34, v34, v7
	v_fma_f16 v4, v65, 0xb93d, -v6
	v_fmac_f16_e32 v28, 0xba0c, v21
	v_mul_f16_e32 v7, 0x36a6, v30
	v_add_f16_e32 v32, v2, v54
	v_fmamk_f16 v2, v65, 0x36a6, v3
	v_fmamk_f16 v25, v65, 0xb93d, v6
	v_add_f16_e32 v4, v4, v35
	v_add_f16_e32 v35, v28, v53
	v_fmamk_f16 v28, v21, 0xbb47, v7
	v_add_f16_e32 v6, v2, v55
	v_mul_f16_e32 v2, 0xbbeb, v60
	v_mul_f16_e32 v29, 0xb08e, v30
	v_fmac_f16_e32 v7, 0x3b47, v21
	v_add_f16_e32 v54, v28, v56
	v_fma_f16 v3, v65, 0x36a6, -v3
	v_fmamk_f16 v28, v65, 0xb08e, v2
	v_fmamk_f16 v30, v21, 0x3beb, v29
	v_fma_f16 v2, v65, 0xb08e, -v2
	v_fmac_f16_e32 v29, 0xbbeb, v21
	v_add_f16_e32 v25, v25, v38
	v_pack_b32_f16 v21, v1, v27
	v_add_f16_e32 v38, v7, v61
	v_add_f16_e32 v7, v28, v58
	;; [unrolled: 1-line block ×6, first 2 shown]
	ds_store_2addr_b32 v39, v0, v21 offset1:13
	v_pack_b32_f16 v21, v24, v31
	v_pack_b32_f16 v28, v25, v32
	;; [unrolled: 1-line block ×9, first 2 shown]
	ds_store_2addr_b32 v39, v21, v28 offset0:26 offset1:39
	ds_store_2addr_b32 v39, v29, v30 offset0:52 offset1:65
	;; [unrolled: 1-line block ×4, first 2 shown]
	ds_store_b32 v39, v59 offset:520
	global_wb scope:SCOPE_SE
	s_wait_dscnt 0x0
	s_barrier_signal -1
	s_barrier_wait -1
	global_inv scope:SCOPE_SE
	s_and_saveexec_b32 s0, vcc_lo
	s_cbranch_execz .LBB0_19
; %bb.18:
	v_add_nc_u32_e32 v2, 0x800, v36
	v_add_nc_u32_e32 v3, 0xc00, v36
	;; [unrolled: 1-line block ×4, first 2 shown]
	ds_load_2addr_b32 v[0:1], v36 offset1:143
	ds_load_2addr_b32 v[24:25], v26 offset0:30 offset1:173
	ds_load_2addr_b32 v[6:7], v2 offset0:60 offset1:203
	;; [unrolled: 1-line block ×5, first 2 shown]
	ds_load_b32 v63, v36 offset:6864
	s_wait_dscnt 0x6
	v_lshrrev_b32_e32 v27, 16, v1
	s_wait_dscnt 0x5
	v_lshrrev_b32_e32 v31, 16, v24
	v_lshrrev_b32_e32 v32, 16, v25
	s_wait_dscnt 0x4
	v_lshrrev_b32_e32 v54, 16, v6
	v_lshrrev_b32_e32 v53, 16, v7
	s_wait_dscnt 0x3
	v_lshrrev_b32_e32 v52, 16, v2
	v_lshrrev_b32_e32 v38, 16, v3
	s_wait_dscnt 0x2
	v_lshrrev_b32_e32 v35, 16, v4
	v_lshrrev_b32_e32 v34, 16, v5
	s_wait_dscnt 0x1
	v_lshrrev_b32_e32 v33, 16, v22
	v_lshrrev_b32_e32 v62, 16, v23
	s_wait_dscnt 0x0
	v_lshrrev_b32_e32 v64, 16, v63
.LBB0_19:
	s_wait_alu 0xfffe
	s_or_b32 exec_lo, exec_lo, s0
	s_and_saveexec_b32 s0, vcc_lo
	s_cbranch_execz .LBB0_21
; %bb.20:
	v_mul_f16_e32 v26, v51, v63
	v_mul_f16_e32 v29, v50, v1
	;; [unrolled: 1-line block ×5, first 2 shown]
	v_fma_f16 v26, v19, v64, -v26
	v_fma_f16 v30, v12, v27, -v29
	v_fmac_f16_e32 v28, v12, v1
	v_mul_f16_e32 v12, v48, v24
	v_fmac_f16_e32 v21, v19, v63
	v_mul_f16_e32 v29, v48, v31
	v_add_f16_e32 v50, v26, v30
	v_fma_f16 v1, v18, v62, -v39
	v_fma_f16 v31, v13, v31, -v12
	v_mul_f16_e32 v12, v49, v62
	v_sub_f16_e32 v19, v28, v21
	v_mul_f16_e32 v48, 0xbbc4, v50
	v_mul_f16_e32 v49, v46, v25
	v_add_f16_e32 v55, v1, v31
	v_fmac_f16_e32 v29, v13, v24
	v_fmac_f16_e32 v12, v18, v23
	v_lshrrev_b32_e32 v27, 16, v0
	v_mul_f16_e32 v39, v47, v22
	v_fmamk_f16 v51, v19, 0x33a8, v48
	v_fma_f16 v24, v14, v32, -v49
	v_mul_f16_e32 v32, v46, v32
	v_mul_f16_e32 v18, v47, v33
	;; [unrolled: 1-line block ×3, first 2 shown]
	v_sub_f16_e32 v23, v29, v12
	v_fma_f16 v13, v17, v33, -v39
	v_fmac_f16_e32 v32, v14, v25
	v_fmac_f16_e32 v18, v17, v22
	v_add_f16_e32 v17, v51, v27
	v_fmamk_f16 v22, v23, 0xb770, v46
	v_mul_f16_e32 v25, v45, v5
	v_mul_f16_e32 v33, v44, v6
	v_add_f16_e32 v47, v13, v24
	v_sub_f16_e32 v14, v32, v18
	v_add_f16_e32 v39, v22, v17
	v_fma_f16 v17, v16, v34, -v25
	v_fma_f16 v25, v15, v54, -v33
	v_mul_f16_e32 v33, v44, v54
	v_mul_f16_e32 v22, v45, v34
	v_mul_f16_e32 v34, v43, v4
	v_mul_f16_e32 v44, v42, v7
	v_mul_f16_e32 v49, 0xb9fd, v47
	v_add_f16_e32 v54, v17, v25
	v_fmac_f16_e32 v33, v15, v6
	v_fmac_f16_e32 v22, v16, v5
	v_fma_f16 v6, v11, v35, -v34
	v_fma_f16 v16, v8, v53, -v44
	v_mul_f16_e32 v34, v42, v53
	v_mul_f16_e32 v15, v43, v35
	v_fmamk_f16 v51, v14, 0x394e, v49
	v_mul_f16_e32 v53, 0x388b, v54
	v_sub_f16_e32 v5, v33, v22
	v_add_f16_e32 v56, v6, v16
	v_fmac_f16_e32 v34, v8, v7
	v_fmac_f16_e32 v15, v11, v4
	v_add_f16_e32 v7, v51, v39
	v_fmamk_f16 v8, v5, 0xba95, v53
	v_mul_f16_e32 v51, 0xb5ac, v56
	v_sub_f16_e32 v57, v30, v26
	v_sub_f16_e32 v4, v34, v15
	v_mul_f16_e32 v11, v41, v3
	v_add_f16_e32 v8, v8, v7
	v_mul_f16_e32 v35, v40, v2
	v_mul_f16_e32 v58, 0xb3a8, v57
	v_fmamk_f16 v39, v4, 0x3b7b, v51
	v_sub_f16_e32 v60, v31, v1
	v_fma_f16 v7, v10, v38, -v11
	v_fma_f16 v35, v9, v52, -v35
	v_mul_f16_e32 v38, v41, v38
	v_add_f16_e32 v42, v39, v8
	v_add_f16_e32 v8, v21, v28
	v_mul_f16_e32 v39, v40, v52
	v_add_f16_e32 v11, v12, v29
	v_mul_f16_e32 v52, 0x3770, v60
	v_sub_f16_e32 v61, v24, v13
	v_fmamk_f16 v40, v8, 0xbbc4, v58
	v_add_f16_e32 v59, v7, v35
	v_fmac_f16_e32 v39, v9, v2
	v_fmac_f16_e32 v38, v10, v3
	v_fmamk_f16 v10, v11, 0x3b15, v52
	v_add_f16_e32 v2, v40, v0
	v_add_f16_e32 v9, v18, v32
	v_mul_f16_e32 v62, 0xb94e, v61
	v_sub_f16_e32 v64, v25, v17
	v_mul_f16_e32 v63, 0x2fb7, v59
	v_sub_f16_e32 v3, v39, v38
	v_add_f16_e32 v2, v10, v2
	v_fmamk_f16 v40, v9, 0xb9fd, v62
	v_add_f16_e32 v10, v22, v33
	v_mul_f16_e32 v65, 0x3a95, v64
	v_sub_f16_e32 v66, v16, v6
	v_fmamk_f16 v41, v3, 0xbbf1, v63
	v_add_f16_e32 v43, v40, v2
	v_add_f16_e32 v40, v15, v34
	v_fmamk_f16 v44, v10, 0x388b, v65
	v_mul_f16_e32 v68, 0xbb7b, v66
	v_sub_f16_e32 v69, v35, v7
	v_add_f16_e32 v2, v41, v42
	v_add_f16_e32 v41, v38, v39
	;; [unrolled: 1-line block ×3, first 2 shown]
	v_fmamk_f16 v44, v40, 0xb5ac, v68
	v_mul_f16_e32 v71, 0x3bf1, v69
	v_mul_f16_e32 v73, 0xb94e, v57
	;; [unrolled: 1-line block ×4, first 2 shown]
	v_add_f16_e32 v42, v44, v42
	v_fmamk_f16 v44, v41, 0x2fb7, v71
	v_mul_f16_e32 v80, 0x33a8, v64
	v_fmamk_f16 v77, v11, 0x2fb7, v75
	v_mul_f16_e32 v82, 0x3770, v66
	v_mul_f16_e32 v84, 0xbb7b, v69
	v_add_f16_e32 v42, v44, v42
	v_fmamk_f16 v44, v8, 0xb9fd, v73
	v_mul_f16_e32 v87, 0xbb7b, v57
	v_mul_f16_e32 v89, 0x394e, v60
	;; [unrolled: 1-line block ×4, first 2 shown]
	v_add_f16_e32 v44, v44, v0
	v_mul_f16_e32 v96, 0x33a8, v66
	v_fmamk_f16 v91, v11, 0xb9fd, v89
	v_mul_f16_e32 v98, 0x3a95, v69
	v_mul_f16_e32 v101, 0xbbf1, v57
	v_add_f16_e32 v44, v77, v44
	v_fmamk_f16 v77, v9, 0x388b, v78
	v_mul_f16_e32 v103, 0xb3a8, v60
	v_mul_f16_e32 v106, 0x3b7b, v61
	;; [unrolled: 1-line block ×4, first 2 shown]
	v_add_f16_e32 v44, v77, v44
	v_fmamk_f16 v77, v10, 0xbbc4, v80
	v_fmamk_f16 v105, v11, 0xbbc4, v103
	v_mul_f16_e32 v110, 0xba95, v66
	v_fmamk_f16 v43, v19, 0x394e, v67
	v_mul_f16_e32 v70, 0x2fb7, v55
	v_add_f16_e32 v44, v77, v44
	v_fmamk_f16 v77, v40, 0x3b15, v82
	v_mul_f16_e32 v112, 0xb94e, v69
	v_add_f16_e32 v43, v43, v27
	;; [unrolled: 3-line block ×8, first 2 shown]
	v_fmamk_f16 v45, v4, 0xb770, v76
	v_add_f16_e32 v77, v91, v77
	v_fmamk_f16 v91, v9, 0x3b15, v92
	v_mul_f16_e32 v79, 0xb5ac, v59
	v_mul_f16_e32 v122, 0x394e, v64
	v_add_f16_e32 v43, v45, v43
	v_mul_f16_e32 v81, 0xb5ac, v50
	v_add_f16_e32 v77, v91, v77
	v_fmamk_f16 v91, v10, 0x2fb7, v94
	v_fmamk_f16 v45, v3, 0x3b7b, v79
	v_mul_f16_e32 v123, 0x3bf1, v66
	v_mul_f16_e32 v83, 0xb9fd, v55
	;; [unrolled: 1-line block ×3, first 2 shown]
	v_add_f16_e32 v77, v91, v77
	v_fmamk_f16 v91, v40, 0xbbc4, v96
	v_add_f16_e32 v43, v45, v43
	v_fmamk_f16 v45, v19, 0x3b7b, v81
	v_fmamk_f16 v85, v23, 0xb94e, v83
	v_mul_f16_e32 v86, 0x3b15, v47
	v_add_f16_e32 v77, v91, v77
	v_fmamk_f16 v91, v41, 0x388b, v98
	v_add_f16_e32 v45, v45, v27
	v_mul_f16_e32 v57, 0xb770, v57
	v_mul_f16_e32 v88, 0x2fb7, v54
	;; [unrolled: 1-line block ×3, first 2 shown]
	v_add_f16_e32 v77, v91, v77
	v_fmamk_f16 v91, v8, 0x2fb7, v101
	v_add_f16_e32 v45, v85, v45
	v_fmamk_f16 v85, v14, 0xb770, v86
	v_mul_f16_e32 v90, 0xbbc4, v56
	v_fmamk_f16 v126, v11, 0x388b, v60
	v_add_f16_e32 v91, v91, v0
	v_mul_f16_e32 v61, 0xbbf1, v61
	v_add_f16_e32 v45, v85, v45
	v_fmamk_f16 v85, v5, 0x3bf1, v88
	v_mul_f16_e32 v93, 0x388b, v59
	v_add_f16_e32 v91, v105, v91
	v_fmamk_f16 v105, v9, 0xb5ac, v106
	;; [unrolled: 3-line block ×3, first 2 shown]
	v_fmac_f16_e32 v48, 0xb3a8, v19
	v_add_f16_e32 v91, v105, v91
	v_fmamk_f16 v105, v10, 0x3b15, v108
	v_mul_f16_e32 v95, 0x2fb7, v50
	v_add_f16_e32 v45, v85, v45
	v_fmamk_f16 v85, v3, 0xba95, v93
	v_add_f16_e32 v48, v48, v27
	v_add_f16_e32 v91, v105, v91
	v_fmamk_f16 v105, v40, 0x388b, v110
	v_fmac_f16_e32 v46, 0x3770, v23
	v_mul_f16_e32 v66, 0xb94e, v66
	v_fma_f16 v58, v8, 0xbbc4, -v58
	v_add_f16_e32 v45, v85, v45
	v_add_f16_e32 v91, v105, v91
	v_fmamk_f16 v105, v41, 0xb9fd, v112
	v_fmamk_f16 v85, v19, 0x3bf1, v95
	v_mul_f16_e32 v97, 0xbbc4, v55
	v_add_f16_e32 v46, v46, v48
	v_fmac_f16_e32 v49, 0xb94e, v14
	v_add_f16_e32 v91, v105, v91
	v_fmamk_f16 v105, v8, 0x388b, v115
	v_fmamk_f16 v48, v40, 0xb9fd, v66
	v_mul_f16_e32 v69, 0xb3a8, v69
	v_add_f16_e32 v58, v58, v0
	v_fma_f16 v52, v11, 0x3b15, -v52
	v_add_f16_e32 v105, v105, v0
	v_add_f16_e32 v85, v85, v27
	v_fmamk_f16 v99, v23, 0x33a8, v97
	v_mul_f16_e32 v100, 0xb5ac, v47
	v_add_f16_e32 v46, v49, v46
	v_add_f16_e32 v105, v119, v105
	v_fmamk_f16 v119, v9, 0xbbc4, v120
	v_fmamk_f16 v49, v41, 0xbbc4, v69
	v_add_f16_e32 v52, v52, v58
	v_fma_f16 v58, v9, 0xb9fd, -v62
	v_add_f16_e32 v85, v99, v85
	v_add_f16_e32 v105, v119, v105
	v_fmamk_f16 v119, v10, 0xb9fd, v122
	v_fmamk_f16 v99, v14, 0xbb7b, v100
	v_mul_f16_e32 v102, 0x3b15, v54
	v_fmac_f16_e32 v53, 0x3a95, v5
	v_mul_f16_e32 v104, 0x388b, v56
	v_add_f16_e32 v105, v119, v105
	v_fmamk_f16 v119, v40, 0x2fb7, v123
	v_add_f16_e32 v85, v99, v85
	v_fmamk_f16 v99, v5, 0xb770, v102
	v_add_f16_e32 v46, v53, v46
	v_fma_f16 v53, v8, 0xb9fd, -v73
	v_add_f16_e32 v105, v119, v105
	v_fmamk_f16 v119, v41, 0x3b15, v124
	v_add_f16_e32 v85, v99, v85
	v_fmamk_f16 v99, v4, 0x3a95, v104
	v_mul_f16_e32 v107, 0xb9fd, v59
	v_add_f16_e32 v53, v53, v0
	v_add_f16_e32 v105, v119, v105
	v_fmamk_f16 v119, v8, 0x3b15, v57
	v_add_f16_e32 v85, v99, v85
	v_fmamk_f16 v99, v3, 0x394e, v107
	v_mul_f16_e32 v109, 0x388b, v50
	v_mul_f16_e32 v111, 0xb5ac, v55
	v_add_f16_e32 v119, v119, v0
	v_add_f16_e32 v30, v30, v27
	;; [unrolled: 1-line block ×3, first 2 shown]
	v_fmamk_f16 v99, v19, 0x3a95, v109
	v_add_f16_e32 v28, v28, v0
	v_add_f16_e32 v119, v126, v119
	v_fmamk_f16 v126, v9, 0x2fb7, v61
	v_fmamk_f16 v113, v23, 0x3b7b, v111
	v_add_f16_e32 v99, v99, v27
	v_mul_f16_e32 v114, 0xbbc4, v47
	v_add_f16_e32 v30, v31, v30
	v_add_f16_e32 v119, v126, v119
	v_fmamk_f16 v126, v10, 0xb5ac, v64
	v_add_f16_e32 v28, v29, v28
	v_fma_f16 v62, v8, 0xb5ac, -v87
	v_add_f16_e32 v99, v113, v99
	v_fmamk_f16 v113, v14, 0x33a8, v114
	v_add_f16_e32 v119, v126, v119
	v_mul_f16_e32 v116, 0xb9fd, v54
	v_add_f16_e32 v24, v24, v30
	v_add_f16_e32 v28, v32, v28
	v_add_f16_e32 v99, v113, v99
	v_add_f16_e32 v48, v48, v119
	v_fmamk_f16 v113, v5, 0xb94e, v116
	v_mul_f16_e32 v118, 0x2fb7, v56
	v_add_f16_e32 v24, v25, v24
	v_add_f16_e32 v25, v33, v28
	;; [unrolled: 1-line block ×4, first 2 shown]
	v_fma_f16 v52, v10, 0x388b, -v65
	v_fma_f16 v58, v11, 0x2fb7, -v75
	v_add_f16_e32 v99, v113, v99
	v_fmamk_f16 v113, v4, 0xbbf1, v118
	v_mul_f16_e32 v121, 0x3b15, v59
	v_add_f16_e32 v49, v52, v49
	v_fma_f16 v52, v40, 0xb5ac, -v68
	v_add_f16_e32 v16, v16, v24
	v_add_f16_e32 v24, v34, v25
	v_fmac_f16_e32 v51, 0xbb7b, v4
	v_fmac_f16_e32 v67, 0xb94e, v19
	v_add_f16_e32 v49, v52, v49
	v_fma_f16 v52, v41, 0x2fb7, -v71
	v_add_f16_e32 v99, v113, v99
	v_fmamk_f16 v113, v3, 0xb770, v121
	v_mul_f16_e32 v50, 0x3b15, v50
	v_add_f16_e32 v16, v35, v16
	v_add_f16_e32 v49, v52, v49
	v_add_f16_e32 v52, v58, v53
	v_fma_f16 v53, v9, 0x388b, -v78
	v_add_f16_e32 v24, v39, v24
	v_add_f16_e32 v46, v51, v46
	;; [unrolled: 1-line block ×3, first 2 shown]
	v_fma_f16 v65, v10, 0x2fb7, -v94
	v_add_f16_e32 v52, v53, v52
	v_fma_f16 v53, v10, 0xbbc4, -v80
	v_fma_f16 v67, v11, 0xbbc4, -v103
	v_add_f16_e32 v99, v113, v99
	v_fmamk_f16 v113, v19, 0x3770, v50
	v_mul_f16_e32 v55, 0x388b, v55
	v_add_f16_e32 v52, v53, v52
	v_fma_f16 v53, v40, 0x3b15, -v82
	v_add_f16_e32 v7, v7, v16
	v_add_f16_e32 v16, v38, v24
	v_fmac_f16_e32 v63, 0x3bf1, v3
	v_add_f16_e32 v113, v113, v27
	v_add_f16_e32 v52, v53, v52
	;; [unrolled: 1-line block ×3, first 2 shown]
	v_fma_f16 v62, v11, 0xb9fd, -v89
	v_fmamk_f16 v125, v23, 0x3a95, v55
	v_mul_f16_e32 v47, 0x2fb7, v47
	v_add_f16_e32 v6, v6, v7
	v_add_f16_e32 v7, v15, v16
	;; [unrolled: 1-line block ×3, first 2 shown]
	v_fma_f16 v62, v9, 0x3b15, -v92
	v_fmac_f16_e32 v81, 0xbb7b, v19
	v_fmac_f16_e32 v70, 0x3bf1, v23
	v_add_f16_e32 v46, v63, v46
	v_fma_f16 v63, v41, 0xb5ac, -v84
	v_add_f16_e32 v53, v62, v53
	v_fma_f16 v62, v8, 0x2fb7, -v101
	v_fmac_f16_e32 v95, 0xbbf1, v19
	v_fmac_f16_e32 v109, 0xba95, v19
	v_fma_f16 v68, v8, 0x388b, -v115
	v_add_f16_e32 v53, v65, v53
	v_add_f16_e32 v62, v62, v0
	v_fma_f16 v65, v40, 0xbbc4, -v96
	v_fmac_f16_e32 v50, 0xb770, v19
	v_fma_f16 v8, v8, 0x3b15, -v57
	v_add_f16_e32 v113, v125, v113
	v_add_f16_e32 v62, v67, v62
	v_fma_f16 v67, v9, 0xb5ac, -v106
	v_add_f16_e32 v53, v65, v53
	v_fmamk_f16 v125, v14, 0x3bf1, v47
	v_mul_f16_e32 v54, 0xb5ac, v54
	v_add_f16_e32 v6, v17, v6
	v_add_f16_e32 v62, v67, v62
	v_fma_f16 v67, v41, 0x388b, -v98
	v_add_f16_e32 v7, v22, v7
	v_add_f16_e32 v58, v81, v27
	v_fmac_f16_e32 v83, 0x394e, v23
	v_add_f16_e32 v51, v70, v51
	v_add_f16_e32 v52, v63, v52
	v_add_f16_e32 v63, v95, v27
	v_fmac_f16_e32 v97, 0xb3a8, v23
	v_add_f16_e32 v53, v67, v53
	v_add_f16_e32 v67, v109, v27
	v_fmac_f16_e32 v111, 0xbb7b, v23
	v_add_f16_e32 v68, v68, v0
	v_fma_f16 v70, v11, 0xb5ac, -v117
	v_add_f16_e32 v24, v50, v27
	v_fmac_f16_e32 v55, 0xba95, v23
	v_add_f16_e32 v0, v8, v0
	v_fma_f16 v8, v11, 0x388b, -v60
	v_add_f16_e32 v113, v125, v113
	v_fmamk_f16 v125, v5, 0x3b7b, v54
	v_mul_f16_e32 v56, 0xb9fd, v56
	v_add_f16_e32 v6, v13, v6
	v_add_f16_e32 v7, v18, v7
	v_fmac_f16_e32 v72, 0xba95, v14
	v_add_f16_e32 v58, v83, v58
	v_fmac_f16_e32 v86, 0x3770, v14
	;; [unrolled: 2-line block ×4, first 2 shown]
	v_add_f16_e32 v29, v70, v68
	v_fma_f16 v31, v9, 0xbbc4, -v120
	v_add_f16_e32 v11, v55, v24
	v_fmac_f16_e32 v47, 0xbbf1, v14
	v_add_f16_e32 v0, v8, v0
	v_fma_f16 v8, v9, 0x2fb7, -v61
	v_add_f16_e32 v113, v125, v113
	v_fmamk_f16 v125, v4, 0x394e, v56
	v_mul_f16_e32 v59, 0xbbc4, v59
	v_fmac_f16_e32 v74, 0x33a8, v5
	v_fmac_f16_e32 v88, 0xbbf1, v5
	;; [unrolled: 1-line block ×5, first 2 shown]
	v_add_f16_e32 v1, v1, v6
	v_add_f16_e32 v5, v12, v7
	v_add_f16_e32 v51, v72, v51
	v_add_f16_e32 v58, v86, v58
	v_add_f16_e32 v63, v100, v63
	v_fma_f16 v65, v10, 0x3b15, -v108
	v_add_f16_e32 v67, v114, v67
	v_add_f16_e32 v29, v31, v29
	v_fma_f16 v28, v10, 0xb9fd, -v122
	v_add_f16_e32 v9, v47, v11
	v_add_f16_e32 v0, v8, v0
	v_fma_f16 v6, v10, 0xb5ac, -v64
	v_add_f16_e32 v113, v125, v113
	v_fmamk_f16 v125, v3, 0x33a8, v59
	v_add_f16_e32 v1, v26, v1
	v_add_f16_e32 v5, v21, v5
	;; [unrolled: 1-line block ×3, first 2 shown]
	v_fmac_f16_e32 v76, 0x3770, v4
	v_add_f16_e32 v58, v88, v58
	v_fmac_f16_e32 v90, 0x33a8, v4
	v_add_f16_e32 v63, v102, v63
	;; [unrolled: 2-line block ×3, first 2 shown]
	v_fma_f16 v65, v40, 0x388b, -v110
	v_add_f16_e32 v30, v116, v67
	v_fmac_f16_e32 v118, 0x3bf1, v4
	v_add_f16_e32 v25, v28, v29
	v_fma_f16 v28, v40, 0x2fb7, -v123
	v_add_f16_e32 v7, v54, v9
	v_fmac_f16_e32 v56, 0xb94e, v4
	v_add_f16_e32 v0, v6, v0
	v_fma_f16 v4, v40, 0xb9fd, -v66
	v_add_f16_e32 v113, v125, v113
	v_lshlrev_b32_e32 v1, 16, v1
	v_and_b32_e32 v5, 0xffff, v5
	v_add_f16_e32 v51, v76, v51
	v_fmac_f16_e32 v79, 0xbb7b, v3
	v_add_f16_e32 v58, v90, v58
	v_fmac_f16_e32 v93, 0x3a95, v3
	;; [unrolled: 2-line block ×3, first 2 shown]
	v_add_f16_e32 v62, v65, v62
	v_fma_f16 v65, v41, 0xb9fd, -v112
	v_add_f16_e32 v30, v118, v30
	v_fmac_f16_e32 v121, 0x3770, v3
	v_add_f16_e32 v25, v28, v25
	v_fma_f16 v19, v41, 0x3b15, -v124
	v_add_f16_e32 v6, v56, v7
	v_fmac_f16_e32 v59, 0xb3a8, v3
	v_add_f16_e32 v0, v4, v0
	v_fma_f16 v3, v41, 0xbbc4, -v69
	v_or_b32_e32 v1, v1, v5
	v_pack_b32_f16 v4, v48, v113
	v_pack_b32_f16 v5, v105, v99
	;; [unrolled: 1-line block ×3, first 2 shown]
	v_add_nc_u32_e32 v8, 0x400, v36
	v_add_f16_e32 v51, v79, v51
	v_add_f16_e32 v58, v93, v58
	;; [unrolled: 1-line block ×8, first 2 shown]
	ds_store_2addr_b32 v36, v1, v4 offset1:143
	ds_store_2addr_b32 v8, v5, v7 offset0:30 offset1:173
	v_pack_b32_f16 v1, v77, v45
	v_pack_b32_f16 v3, v44, v43
	v_add_nc_u32_e32 v4, 0x800, v36
	v_pack_b32_f16 v2, v42, v2
	v_pack_b32_f16 v5, v49, v46
	v_add_nc_u32_e32 v7, 0xc00, v36
	;; [unrolled: 3-line block ×4, first 2 shown]
	v_pack_b32_f16 v0, v0, v6
	ds_store_2addr_b32 v4, v1, v3 offset0:60 offset1:203
	ds_store_2addr_b32 v7, v2, v5 offset0:90 offset1:233
	;; [unrolled: 1-line block ×4, first 2 shown]
	ds_store_b32 v36, v0 offset:6864
.LBB0_21:
	s_wait_alu 0xfffe
	s_or_b32 exec_lo, exec_lo, s0
	global_wb scope:SCOPE_SE
	s_wait_dscnt 0x0
	s_barrier_signal -1
	s_barrier_wait -1
	global_inv scope:SCOPE_SE
	s_and_b32 exec_lo, exec_lo, vcc_lo
	s_cbranch_execz .LBB0_23
; %bb.22:
	s_clause 0x6
	global_load_b32 v0, v36, s[20:21]
	global_load_b32 v15, v36, s[20:21] offset:572
	global_load_b32 v18, v36, s[20:21] offset:1144
	global_load_b32 v21, v36, s[20:21] offset:1716
	global_load_b32 v22, v36, s[20:21] offset:2288
	global_load_b32 v26, v36, s[20:21] offset:2860
	global_load_b32 v43, v36, s[20:21] offset:3432
	v_add_nc_u32_e32 v3, 0x200, v36
	v_add_nc_u32_e32 v5, 0x600, v36
	;; [unrolled: 1-line block ×3, first 2 shown]
	ds_load_b32 v16, v36
	ds_load_2addr_b32 v[3:4], v3 offset0:15 offset1:158
	ds_load_2addr_b32 v[5:6], v5 offset0:45 offset1:188
	;; [unrolled: 1-line block ×3, first 2 shown]
	v_mad_co_u64_u32 v[8:9], null, s4, v37, 0
	v_mad_co_u64_u32 v[1:2], null, s6, v20, 0
	s_mov_b32 s24, 0x2ab08acf
	s_mov_b32 s25, 0x3f41a06e
	s_mul_u64 s[22:23], s[4:5], 0x23c
	s_delay_alu instid0(VALU_DEP_2) | instskip(SKIP_1) | instid1(VALU_DEP_2)
	v_mov_b32_e32 v7, v9
	s_wait_dscnt 0x2
	v_mad_co_u64_u32 v[12:13], null, s7, v20, v[2:3]
	s_delay_alu instid0(VALU_DEP_2)
	v_mad_co_u64_u32 v[13:14], null, s5, v37, v[7:8]
	v_lshrrev_b32_e32 v7, 16, v16
	v_lshrrev_b32_e32 v19, 16, v4
	s_wait_dscnt 0x1
	v_lshrrev_b32_e32 v20, 16, v5
	s_wait_dscnt 0x0
	v_lshrrev_b32_e32 v27, 16, v10
	v_mov_b32_e32 v2, v12
	v_lshrrev_b32_e32 v12, 16, v3
	v_mov_b32_e32 v9, v13
	v_lshrrev_b32_e32 v23, 16, v6
	v_lshrrev_b32_e32 v44, 16, v11
	v_lshlrev_b64_e32 v[1:2], 2, v[1:2]
	s_delay_alu instid0(VALU_DEP_4)
	v_lshlrev_b64_e32 v[8:9], 2, v[8:9]
	s_wait_loadcnt 0x6
	v_lshrrev_b32_e32 v13, 16, v0
	s_wait_loadcnt 0x5
	v_lshrrev_b32_e32 v14, 16, v15
	;; [unrolled: 2-line block ×5, first 2 shown]
	v_mul_f16_e32 v29, v7, v13
	v_mul_f16_e32 v13, v16, v13
	;; [unrolled: 1-line block ×5, first 2 shown]
	v_fmac_f16_e32 v29, v16, v0
	v_fma_f16 v0, v0, v7, -v13
	v_fmac_f16_e32 v30, v3, v15
	v_fma_f16 v7, v15, v12, -v14
	s_wait_loadcnt 0x1
	v_lshrrev_b32_e32 v28, 16, v26
	v_cvt_f32_f16_e32 v16, v29
	v_cvt_f32_f16_e32 v0, v0
	v_mul_f16_e32 v32, v4, v17
	v_fmac_f16_e32 v31, v4, v18
	v_cvt_f32_f16_e32 v4, v7
	v_cvt_f64_f32_e32 v[12:13], v16
	v_cvt_f32_f16_e32 v16, v30
	v_cvt_f64_f32_e32 v[14:15], v0
	v_mul_f16_e32 v33, v20, v24
	v_mul_f16_e32 v24, v5, v24
	;; [unrolled: 1-line block ×3, first 2 shown]
	v_cvt_f64_f32_e32 v[16:17], v16
	v_mul_f16_e32 v7, v10, v28
	v_fma_f16 v28, v18, v19, -v32
	v_cvt_f32_f16_e32 v29, v31
	v_cvt_f64_f32_e32 v[18:19], v4
	v_mul_f16_e32 v3, v23, v25
	v_mul_f16_e32 v25, v6, v25
	v_fmac_f16_e32 v33, v5, v21
	v_fma_f16 v5, v21, v20, -v24
	v_cvt_f32_f16_e32 v24, v28
	v_cvt_f64_f32_e32 v[20:21], v29
	v_fmac_f16_e32 v3, v6, v22
	v_cvt_f32_f16_e32 v28, v33
	v_fma_f16 v6, v22, v23, -v25
	v_cvt_f64_f32_e32 v[22:23], v24
	v_cvt_f32_f16_e32 v5, v5
	v_fmac_f16_e32 v0, v10, v26
	v_cvt_f64_f32_e32 v[24:25], v28
	v_fma_f16 v7, v26, v27, -v7
	v_cvt_f32_f16_e32 v3, v3
	v_cvt_f64_f32_e32 v[26:27], v5
	v_cvt_f32_f16_e32 v6, v6
	v_cvt_f32_f16_e32 v0, v0
	s_wait_loadcnt 0x0
	v_lshrrev_b32_e32 v45, 16, v43
	v_cvt_f64_f32_e32 v[28:29], v3
	v_cvt_f32_f16_e32 v5, v7
	v_cvt_f64_f32_e32 v[30:31], v6
	v_cvt_f64_f32_e32 v[32:33], v0
	v_add_co_u32 v0, vcc_lo, s8, v1
	s_wait_alu 0xfffd
	v_add_co_ci_u32_e32 v1, vcc_lo, s9, v2, vcc_lo
	v_mul_f64_e32 v[12:13], s[24:25], v[12:13]
	s_delay_alu instid0(VALU_DEP_3)
	v_add_co_u32 v8, vcc_lo, v0, v8
	v_mul_f64_e32 v[14:15], s[24:25], v[14:15]
	s_wait_alu 0xfffd
	v_add_co_ci_u32_e32 v9, vcc_lo, v1, v9, vcc_lo
	v_mul_f64_e32 v[16:17], s[24:25], v[16:17]
	v_mul_f16_e32 v4, v44, v45
	v_add_co_u32 v39, vcc_lo, v8, s22
	v_mul_f64_e32 v[18:19], s[24:25], v[18:19]
	s_wait_alu 0xfffd
	v_add_co_ci_u32_e32 v40, vcc_lo, s23, v9, vcc_lo
	v_fmac_f16_e32 v4, v11, v43
	v_add_co_u32 v41, vcc_lo, v39, s22
	v_mul_f64_e32 v[20:21], s[24:25], v[20:21]
	v_mul_f16_e32 v0, v11, v45
	s_wait_alu 0xfffd
	v_add_co_ci_u32_e32 v42, vcc_lo, s23, v40, vcc_lo
	v_mul_f64_e32 v[22:23], s[24:25], v[22:23]
	v_cvt_f32_f16_e32 v4, v4
	v_cvt_f64_f32_e32 v[34:35], v5
	v_mul_f64_e32 v[24:25], s[24:25], v[24:25]
	v_fma_f16 v43, v43, v44, -v0
	v_mul_f64_e32 v[10:11], s[24:25], v[26:27]
	v_add_co_u32 v26, vcc_lo, v41, s22
	s_wait_alu 0xfffd
	v_add_co_ci_u32_e32 v27, vcc_lo, s23, v42, vcc_lo
	v_mul_f64_e32 v[28:29], s[24:25], v[28:29]
	v_mul_f64_e32 v[30:31], s[24:25], v[30:31]
	v_mul_f64_e32 v[32:33], s[24:25], v[32:33]
	v_cvt_f64_f32_e32 v[37:38], v4
	s_clause 0x3
	global_load_b32 v7, v36, s[20:21] offset:4004
	global_load_b32 v4, v36, s[20:21] offset:4576
	;; [unrolled: 1-line block ×4, first 2 shown]
	v_and_or_b32 v12, 0x1ff, v13, v12
	v_and_or_b32 v14, 0x1ff, v15, v14
	s_delay_alu instid0(VALU_DEP_2)
	v_cmp_ne_u32_e32 vcc_lo, 0, v12
	v_and_or_b32 v16, 0x1ff, v17, v16
	v_lshrrev_b32_e32 v44, 8, v17
	v_bfe_u32 v45, v17, 20, 11
	v_lshrrev_b32_e32 v17, 16, v17
	s_wait_alu 0xfffd
	v_cndmask_b32_e64 v12, 0, 1, vcc_lo
	v_cmp_ne_u32_e32 vcc_lo, 0, v14
	v_and_or_b32 v18, 0x1ff, v19, v18
	v_sub_nc_u32_e32 v64, 0x3f1, v45
	v_bfe_u32 v47, v19, 20, 11
	v_lshrrev_b32_e32 v46, 8, v19
	s_wait_alu 0xfffd
	v_cndmask_b32_e64 v14, 0, 1, vcc_lo
	v_cmp_ne_u32_e32 vcc_lo, 0, v16
	v_and_or_b32 v20, 0x1ff, v21, v20
	v_lshrrev_b32_e32 v48, 8, v21
	v_and_or_b32 v22, 0x1ff, v23, v22
	v_bfe_u32 v49, v21, 20, 11
	s_wait_alu 0xfffd
	v_cndmask_b32_e64 v16, 0, 1, vcc_lo
	v_cmp_ne_u32_e32 vcc_lo, 0, v18
	v_and_or_b32 v24, 0x1ff, v25, v24
	v_lshrrev_b32_e32 v52, 8, v25
	v_and_or_b32 v10, 0x1ff, v11, v10
	v_bfe_u32 v53, v25, 20, 11
	s_wait_alu 0xfffd
	v_cndmask_b32_e64 v18, 0, 1, vcc_lo
	v_cmp_ne_u32_e32 vcc_lo, 0, v20
	v_mul_f64_e32 v[2:3], s[24:25], v[34:35]
	v_and_or_b32 v28, 0x1ff, v29, v28
	v_and_or_b32 v30, 0x1ff, v31, v30
	;; [unrolled: 1-line block ×3, first 2 shown]
	s_wait_alu 0xfffd
	v_cndmask_b32_e64 v20, 0, 1, vcc_lo
	v_cmp_ne_u32_e32 vcc_lo, 0, v22
	v_lshrrev_b32_e32 v60, 8, v33
	v_bfe_u32 v61, v33, 20, 11
	v_lshrrev_b32_e32 v56, 8, v29
	v_bfe_u32 v57, v29, 20, 11
	s_wait_alu 0xfffd
	v_cndmask_b32_e64 v22, 0, 1, vcc_lo
	v_cmp_ne_u32_e32 vcc_lo, 0, v24
	v_sub_nc_u32_e32 v72, 0x3f1, v61
	v_add_nc_u32_e32 v61, 0xfffffc10, v61
	v_sub_nc_u32_e32 v70, 0x3f1, v57
	v_bfe_u32 v59, v31, 20, 11
	s_wait_alu 0xfffd
	v_cndmask_b32_e64 v24, 0, 1, vcc_lo
	v_cmp_ne_u32_e32 vcc_lo, 0, v10
	v_sub_nc_u32_e32 v68, 0x3f1, v53
	v_lshrrev_b32_e32 v34, 8, v13
	v_bfe_u32 v51, v23, 20, 11
	v_and_or_b32 v24, 0xffe, v52, v24
	s_wait_alu 0xfffd
	v_cndmask_b32_e64 v10, 0, 1, vcc_lo
	v_cmp_ne_u32_e32 vcc_lo, 0, v28
	v_lshrrev_b32_e32 v58, 8, v31
	v_sub_nc_u32_e32 v66, 0x3f1, v49
	v_sub_nc_u32_e32 v71, 0x3f1, v59
	v_and_or_b32 v20, 0xffe, v48, v20
	s_wait_alu 0xfffd
	v_cndmask_b32_e64 v28, 0, 1, vcc_lo
	v_cmp_ne_u32_e32 vcc_lo, 0, v30
	v_mul_f64_e32 v[0:1], s[24:25], v[37:38]
	v_bfe_u32 v35, v13, 20, 11
	v_bfe_u32 v38, v15, 20, 11
	v_and_or_b32 v28, 0xffe, v56, v28
	s_wait_alu 0xfffd
	v_cndmask_b32_e64 v30, 0, 1, vcc_lo
	v_cmp_ne_u32_e32 vcc_lo, 0, v32
	v_lshrrev_b32_e32 v50, 8, v23
	v_sub_nc_u32_e32 v67, 0x3f1, v51
	v_and_or_b32 v12, 0xffe, v34, v12
	v_and_or_b32 v16, 0xffe, v44, v16
	s_wait_alu 0xfffd
	v_cndmask_b32_e64 v32, 0, 1, vcc_lo
	v_and_or_b32 v30, 0xffe, v58, v30
	v_med3_i32 v58, v71, 0, 13
	v_lshrrev_b32_e32 v37, 8, v15
	v_sub_nc_u32_e32 v62, 0x3f1, v35
	v_and_or_b32 v32, 0xffe, v60, v32
	v_sub_nc_u32_e32 v63, 0x3f1, v38
	v_and_or_b32 v22, 0xffe, v50, v22
	v_med3_i32 v50, v67, 0, 13
	v_cmp_ne_u32_e32 vcc_lo, 0, v12
	v_lshl_or_b32 v83, v61, 12, v32
	v_add_nc_u32_e32 v57, 0xfffffc10, v57
	v_med3_i32 v34, v62, 0, 13
	v_and_or_b32 v14, 0xffe, v37, v14
	v_med3_i32 v37, v63, 0, 13
	v_or_b32_e32 v62, 0x1000, v12
	v_lshl_or_b32 v79, v57, 12, v28
	v_add_nc_u32_e32 v53, 0xfffffc10, v53
	v_lshrrev_b32_e32 v54, 8, v11
	v_bfe_u32 v55, v11, 20, 11
	v_add_nc_u32_e32 v38, 0xfffffc10, v38
	v_sub_nc_u32_e32 v65, 0x3f1, v47
	v_lshl_or_b32 v75, v53, 12, v24
	v_add_nc_u32_e32 v49, 0xfffffc10, v49
	v_sub_nc_u32_e32 v69, 0x3f1, v55
	v_and_or_b32 v10, 0xffe, v54, v10
	v_med3_i32 v44, v64, 0, 13
	v_and_or_b32 v18, 0xffe, v46, v18
	v_lshl_or_b32 v71, v49, 12, v20
	v_add_nc_u32_e32 v45, 0xfffffc10, v45
	v_med3_i32 v46, v65, 0, 13
	v_or_b32_e32 v64, 0x1000, v14
	v_lshl_or_b32 v65, v38, 12, v14
	v_med3_i32 v48, v66, 0, 13
	v_lshl_or_b32 v67, v45, 12, v16
	v_add_nc_u32_e32 v35, 0xfffffc10, v35
	v_or_b32_e32 v66, 0x1000, v16
	v_med3_i32 v52, v68, 0, 13
	v_med3_i32 v54, v69, 0, 13
	v_or_b32_e32 v68, 0x1000, v18
	v_lshl_or_b32 v63, v35, 12, v12
	s_wait_alu 0xfffd
	v_cndmask_b32_e64 v12, 0, 1, vcc_lo
	v_cmp_ne_u32_e32 vcc_lo, 0, v14
	v_med3_i32 v56, v70, 0, 13
	v_or_b32_e32 v70, 0x1000, v20
	v_med3_i32 v60, v72, 0, 13
	v_lshl_or_b32 v12, v12, 9, 0x7c00
	v_add_nc_u32_e32 v59, 0xfffffc10, v59
	s_wait_alu 0xfffd
	v_cndmask_b32_e64 v14, 0, 1, vcc_lo
	v_cmp_ne_u32_e32 vcc_lo, 0, v16
	v_or_b32_e32 v72, 0x1000, v22
	v_or_b32_e32 v74, 0x1000, v24
	v_lshl_or_b32 v81, v59, 12, v30
	v_add_nc_u32_e32 v55, 0xfffffc10, v55
	s_wait_alu 0xfffd
	v_cndmask_b32_e64 v16, 0, 1, vcc_lo
	v_cmp_ne_u32_e32 vcc_lo, 0, v18
	v_or_b32_e32 v76, 0x1000, v10
	v_lshrrev_b32_e32 v84, v34, v62
	v_lshl_or_b32 v77, v55, 12, v10
	v_add_nc_u32_e32 v51, 0xfffffc10, v51
	v_or_b32_e32 v78, 0x1000, v28
	v_lshrrev_b32_e32 v85, v37, v64
	v_lshlrev_b32_e32 v34, v34, v84
	v_or_b32_e32 v80, 0x1000, v30
	v_lshl_or_b32 v73, v51, 12, v22
	v_add_nc_u32_e32 v47, 0xfffffc10, v47
	v_lshlrev_b32_e32 v37, v37, v85
	v_lshrrev_b32_e32 v86, v44, v66
	v_lshrrev_b32_e32 v87, v46, v68
	;; [unrolled: 1-line block ×3, first 2 shown]
	v_lshl_or_b32 v69, v47, 12, v18
	s_wait_alu 0xfffd
	v_cndmask_b32_e64 v18, 0, 1, vcc_lo
	v_cmp_ne_u32_e32 vcc_lo, 0, v20
	v_lshlrev_b32_e32 v46, v46, v87
	v_lshrrev_b32_e32 v89, v50, v72
	v_lshlrev_b32_e32 v48, v48, v88
	v_lshrrev_b32_e32 v90, v52, v74
	s_wait_alu 0xfffd
	v_cndmask_b32_e64 v20, 0, 1, vcc_lo
	v_cmp_ne_u32_e32 vcc_lo, 0, v22
	v_lshlrev_b32_e32 v50, v50, v89
	v_lshrrev_b32_e32 v91, v54, v76
	v_lshlrev_b32_e32 v52, v52, v90
	v_lshrrev_b32_e32 v92, v56, v78
	s_wait_alu 0xfffd
	v_cndmask_b32_e64 v22, 0, 1, vcc_lo
	v_cmp_ne_u32_e32 vcc_lo, 0, v24
	v_lshlrev_b32_e32 v54, v54, v91
	v_or_b32_e32 v82, 0x1000, v32
	v_lshrrev_b32_e32 v93, v58, v80
	v_lshlrev_b32_e32 v56, v56, v92
	s_wait_alu 0xfffd
	v_cndmask_b32_e64 v24, 0, 1, vcc_lo
	v_cmp_ne_u32_e32 vcc_lo, 0, v10
	v_lshrrev_b32_e32 v94, v60, v82
	v_lshlrev_b32_e32 v58, v58, v93
	v_lshl_or_b32 v16, v16, 9, 0x7c00
	v_lshl_or_b32 v14, v14, 9, 0x7c00
	s_wait_alu 0xfffd
	v_cndmask_b32_e64 v10, 0, 1, vcc_lo
	v_cmp_ne_u32_e32 vcc_lo, 0, v28
	v_lshlrev_b32_e32 v60, v60, v94
	v_lshl_or_b32 v18, v18, 9, 0x7c00
	v_lshl_or_b32 v20, v20, 9, 0x7c00
	;; [unrolled: 1-line block ×3, first 2 shown]
	s_wait_alu 0xfffd
	v_cndmask_b32_e64 v28, 0, 1, vcc_lo
	v_cmp_ne_u32_e32 vcc_lo, 0, v30
	v_lshl_or_b32 v24, v24, 9, 0x7c00
	v_lshrrev_b32_e32 v13, 16, v13
	v_lshrrev_b32_e32 v15, 16, v15
	v_lshrrev_b32_e32 v19, 16, v19
	s_wait_alu 0xfffd
	v_cndmask_b32_e64 v30, 0, 1, vcc_lo
	v_cmp_ne_u32_e32 vcc_lo, v34, v62
	v_lshrrev_b32_e32 v25, 16, v25
	v_lshl_or_b32 v10, v10, 9, 0x7c00
	v_lshrrev_b32_e32 v21, 16, v21
	v_lshrrev_b32_e32 v11, 16, v11
	s_wait_alu 0xfffd
	v_cndmask_b32_e64 v34, 0, 1, vcc_lo
	v_cmp_ne_u32_e32 vcc_lo, v37, v64
	v_lshrrev_b32_e32 v23, 16, v23
	v_lshl_or_b32 v28, v28, 9, 0x7c00
	v_lshrrev_b32_e32 v29, 16, v29
	v_or_b32_e32 v34, v84, v34
	s_wait_alu 0xfffd
	v_cndmask_b32_e64 v37, 0, 1, vcc_lo
	v_lshl_or_b32 v30, v30, 9, 0x7c00
	v_and_or_b32 v2, 0x1ff, v3, v2
	v_and_or_b32 v0, 0x1ff, v1, v0
	s_delay_alu instid0(VALU_DEP_4) | instskip(SKIP_1) | instid1(VALU_DEP_1)
	v_or_b32_e32 v37, v85, v37
	v_lshlrev_b32_e32 v44, v44, v86
	v_cmp_ne_u32_e32 vcc_lo, v44, v66
	s_wait_alu 0xfffd
	v_cndmask_b32_e64 v44, 0, 1, vcc_lo
	v_cmp_ne_u32_e32 vcc_lo, v46, v68
	s_delay_alu instid0(VALU_DEP_2) | instskip(SKIP_3) | instid1(VALU_DEP_2)
	v_or_b32_e32 v44, v86, v44
	s_wait_alu 0xfffd
	v_cndmask_b32_e64 v46, 0, 1, vcc_lo
	v_cmp_ne_u32_e32 vcc_lo, v48, v70
	v_or_b32_e32 v46, v87, v46
	s_wait_alu 0xfffd
	v_cndmask_b32_e64 v48, 0, 1, vcc_lo
	v_cmp_ne_u32_e32 vcc_lo, v50, v72
	s_delay_alu instid0(VALU_DEP_2) | instskip(SKIP_3) | instid1(VALU_DEP_2)
	v_or_b32_e32 v48, v88, v48
	s_wait_alu 0xfffd
	v_cndmask_b32_e64 v50, 0, 1, vcc_lo
	v_cmp_ne_u32_e32 vcc_lo, v52, v74
	v_or_b32_e32 v50, v89, v50
	;; [unrolled: 9-line block ×4, first 2 shown]
	s_wait_alu 0xfffd
	v_cndmask_b32_e64 v60, 0, 1, vcc_lo
	v_cmp_gt_i32_e32 vcc_lo, 1, v35
	s_delay_alu instid0(VALU_DEP_2) | instskip(SKIP_4) | instid1(VALU_DEP_2)
	v_or_b32_e32 v60, v94, v60
	s_wait_alu 0xfffd
	v_cndmask_b32_e32 v34, v63, v34, vcc_lo
	v_cmp_gt_i32_e32 vcc_lo, 1, v38
	s_wait_alu 0xfffd
	v_dual_cndmask_b32 v37, v65, v37 :: v_dual_and_b32 v62, 7, v34
	v_cmp_gt_i32_e32 vcc_lo, 1, v45
	v_lshrrev_b32_e32 v34, 2, v34
	s_delay_alu instid0(VALU_DEP_3) | instskip(SKIP_4) | instid1(VALU_DEP_3)
	v_cmp_eq_u32_e64 s0, 3, v62
	s_wait_alu 0xfffd
	v_dual_cndmask_b32 v44, v67, v44 :: v_dual_and_b32 v63, 7, v37
	v_cmp_gt_i32_e32 vcc_lo, 1, v47
	v_lshrrev_b32_e32 v37, 2, v37
	v_cmp_lt_i32_e64 s1, 5, v63
	s_delay_alu instid0(VALU_DEP_4)
	v_and_b32_e32 v64, 7, v44
	s_wait_alu 0xfffd
	v_cndmask_b32_e32 v46, v69, v46, vcc_lo
	v_cmp_gt_i32_e32 vcc_lo, 1, v49
	v_cmp_eq_u32_e64 s2, 3, v63
	v_lshrrev_b32_e32 v44, 2, v44
	v_cmp_lt_i32_e64 s3, 5, v64
	s_wait_alu 0xfffd
	v_dual_cndmask_b32 v48, v71, v48 :: v_dual_and_b32 v65, 7, v46
	v_cmp_gt_i32_e32 vcc_lo, 1, v51
	v_cmp_eq_u32_e64 s4, 3, v64
	v_lshrrev_b32_e32 v46, 2, v46
	s_delay_alu instid0(VALU_DEP_4)
	v_cmp_lt_i32_e64 s5, 5, v65
	v_and_b32_e32 v66, 7, v48
	s_wait_alu 0xfffd
	v_cndmask_b32_e32 v50, v73, v50, vcc_lo
	v_cmp_gt_i32_e32 vcc_lo, 1, v53
	v_cmp_eq_u32_e64 s6, 3, v65
	v_lshrrev_b32_e32 v48, 2, v48
	v_cmp_lt_i32_e64 s7, 5, v66
	s_wait_alu 0xfffd
	v_dual_cndmask_b32 v52, v75, v52 :: v_dual_and_b32 v67, 7, v50
	v_cmp_gt_i32_e32 vcc_lo, 1, v55
	v_cmp_eq_u32_e64 s8, 3, v66
	v_lshrrev_b32_e32 v50, 2, v50
	s_delay_alu instid0(VALU_DEP_4)
	v_cmp_lt_i32_e64 s9, 5, v67
	;; [unrolled: 14-line block ×3, first 2 shown]
	v_and_b32_e32 v70, 7, v56
	s_wait_alu 0xfffd
	v_cndmask_b32_e32 v58, v81, v58, vcc_lo
	v_cmp_gt_i32_e32 vcc_lo, 1, v61
	v_cmp_eq_u32_e64 s14, 3, v69
	v_lshrrev_b32_e32 v56, 2, v56
	v_cmp_lt_i32_e64 s15, 5, v70
	s_wait_alu 0xfffd
	v_dual_cndmask_b32 v60, v83, v60 :: v_dual_and_b32 v71, 7, v58
	v_cmp_lt_i32_e32 vcc_lo, 5, v62
	v_cmp_eq_u32_e64 s16, 3, v70
	v_lshrrev_b32_e32 v58, 2, v58
	s_delay_alu instid0(VALU_DEP_4)
	v_cmp_lt_i32_e64 s17, 5, v71
	v_cmp_eq_u32_e64 s18, 3, v71
	s_or_b32 vcc_lo, s0, vcc_lo
	v_cmp_ne_u32_e64 s0, 0, v2
	s_wait_alu 0xfffe
	v_add_co_ci_u32_e32 v34, vcc_lo, 0, v34, vcc_lo
	s_or_b32 vcc_lo, s2, s1
	s_wait_alu 0xfffe
	v_add_co_ci_u32_e32 v37, vcc_lo, 0, v37, vcc_lo
	s_or_b32 vcc_lo, s4, s3
	v_cndmask_b32_e64 v2, 0, 1, s0
	s_wait_alu 0xfffe
	v_add_co_ci_u32_e32 v44, vcc_lo, 0, v44, vcc_lo
	s_or_b32 vcc_lo, s6, s5
	s_wait_alu 0xfffe
	v_add_co_ci_u32_e32 v46, vcc_lo, 0, v46, vcc_lo
	s_or_b32 vcc_lo, s8, s7
	;; [unrolled: 3-line block ×7, first 2 shown]
	s_wait_alu 0xfffe
	v_add_co_ci_u32_e32 v58, vcc_lo, 0, v58, vcc_lo
	v_cmp_gt_i32_e32 vcc_lo, 31, v35
	s_wait_alu 0xfffd
	v_cndmask_b32_e32 v34, 0x7c00, v34, vcc_lo
	v_cmp_gt_i32_e32 vcc_lo, 31, v38
	s_wait_alu 0xfffd
	v_cndmask_b32_e32 v37, 0x7c00, v37, vcc_lo
	;; [unrolled: 3-line block ×10, first 2 shown]
	v_cmp_eq_u32_e32 vcc_lo, 0x40f, v35
	s_wait_alu 0xfffd
	v_cndmask_b32_e32 v12, v34, v12, vcc_lo
	v_cmp_eq_u32_e32 vcc_lo, 0x40f, v38
	s_delay_alu instid0(VALU_DEP_2) | instskip(SKIP_3) | instid1(VALU_DEP_3)
	v_and_or_b32 v12, 0x8000, v13, v12
	s_wait_alu 0xfffd
	v_cndmask_b32_e32 v14, v37, v14, vcc_lo
	v_cmp_eq_u32_e32 vcc_lo, 0x40f, v45
	v_and_b32_e32 v12, 0xffff, v12
	s_delay_alu instid0(VALU_DEP_3) | instskip(SKIP_3) | instid1(VALU_DEP_3)
	v_and_or_b32 v13, 0x8000, v15, v14
	s_wait_alu 0xfffd
	v_cndmask_b32_e32 v16, v44, v16, vcc_lo
	v_cmp_eq_u32_e32 vcc_lo, 0x40f, v47
	v_lshl_or_b32 v12, v13, 16, v12
	s_delay_alu instid0(VALU_DEP_3) | instskip(SKIP_3) | instid1(VALU_DEP_3)
	v_and_or_b32 v14, 0x8000, v17, v16
	s_wait_alu 0xfffd
	v_cndmask_b32_e32 v18, v46, v18, vcc_lo
	v_cmp_eq_u32_e32 vcc_lo, 0x40f, v49
	v_and_b32_e32 v14, 0xffff, v14
	s_delay_alu instid0(VALU_DEP_3) | instskip(SKIP_3) | instid1(VALU_DEP_3)
	v_and_or_b32 v15, 0x8000, v19, v18
	s_wait_alu 0xfffd
	v_cndmask_b32_e32 v20, v48, v20, vcc_lo
	v_cmp_eq_u32_e32 vcc_lo, 0x40f, v51
	v_lshl_or_b32 v13, v15, 16, v14
	s_wait_alu 0xfffd
	v_cndmask_b32_e32 v22, v50, v22, vcc_lo
	v_cmp_eq_u32_e32 vcc_lo, 0x40f, v53
	s_delay_alu instid0(VALU_DEP_2) | instskip(SKIP_3) | instid1(VALU_DEP_2)
	v_and_or_b32 v17, 0x8000, v23, v22
	s_wait_alu 0xfffd
	v_cndmask_b32_e32 v24, v52, v24, vcc_lo
	v_cmp_eq_u32_e32 vcc_lo, 0x40f, v55
	v_and_or_b32 v18, 0x8000, v25, v24
	s_wait_alu 0xfffd
	v_cndmask_b32_e32 v10, v54, v10, vcc_lo
	v_cmp_eq_u32_e32 vcc_lo, 0x40f, v57
	v_lshrrev_b32_e32 v25, 8, v1
	s_delay_alu instid0(VALU_DEP_3)
	v_and_or_b32 v10, 0x8000, v11, v10
	v_and_b32_e32 v11, 0xffff, v18
	v_and_or_b32 v16, 0x8000, v21, v20
	s_wait_alu 0xfffd
	v_cndmask_b32_e32 v28, v56, v28, vcc_lo
	v_cmp_eq_u32_e32 vcc_lo, 0x40f, v59
	s_wait_loadcnt 0x3
	v_lshrrev_b32_e32 v21, 16, v7
	v_and_b32_e32 v16, 0xffff, v16
	v_and_or_b32 v15, 0x8000, v29, v28
	s_delay_alu instid0(VALU_DEP_2)
	v_lshl_or_b32 v14, v17, 16, v16
	v_lshl_or_b32 v16, v10, 16, v11
	v_cvt_f32_f16_e32 v10, v43
	s_clause 0x2
	global_store_b32 v[8:9], v12, off
	global_store_b32 v[39:40], v13, off
	;; [unrolled: 1-line block ×3, first 2 shown]
	v_add_nc_u32_e32 v8, 0xe00, v36
	s_wait_alu 0xfffd
	v_cndmask_b32_e32 v12, v58, v30, vcc_lo
	v_lshrrev_b32_e32 v13, 16, v31
	v_cvt_f64_f32_e32 v[10:11], v10
	v_and_b32_e32 v14, 7, v60
	ds_load_2addr_b32 v[8:9], v8 offset0:105 offset1:248
	global_store_b32 v[26:27], v16, off
	v_and_or_b32 v12, 0x8000, v13, v12
	v_and_b32_e32 v13, 0xffff, v15
	v_cmp_lt_i32_e32 vcc_lo, 5, v14
	v_bfe_u32 v16, v3, 20, 11
	v_cmp_eq_u32_e64 s0, 3, v14
	v_lshrrev_b32_e32 v15, 8, v3
	v_lshl_or_b32 v17, v12, 16, v13
	v_lshrrev_b32_e32 v12, 2, v60
	v_sub_nc_u32_e32 v13, 0x3f1, v16
	s_or_b32 vcc_lo, s0, vcc_lo
	v_and_or_b32 v2, 0xffe, v15, v2
	v_add_nc_u32_e32 v16, 0xfffffc10, v16
	s_wait_alu 0xfffe
	v_add_co_ci_u32_e32 v14, vcc_lo, 0, v12, vcc_lo
	v_add_co_u32 v12, vcc_lo, v26, s22
	v_med3_i32 v18, v13, 0, 13
	s_wait_alu 0xfffd
	v_add_co_ci_u32_e32 v13, vcc_lo, s23, v27, vcc_lo
	v_or_b32_e32 v15, 0x1000, v2
	v_cmp_gt_i32_e32 vcc_lo, 31, v61
	s_wait_dscnt 0x0
	v_lshrrev_b32_e32 v19, 16, v8
	v_bfe_u32 v26, v1, 20, 11
	global_load_b32 v20, v36, s[20:21] offset:6292
	v_lshrrev_b32_e32 v23, v18, v15
	s_wait_alu 0xfffd
	v_cndmask_b32_e32 v22, 0x7c00, v14, vcc_lo
	v_cmp_ne_u32_e32 vcc_lo, 0, v32
	v_mul_f16_e32 v14, v19, v21
	global_store_b32 v[12:13], v17, off
	v_lshlrev_b32_e32 v18, v18, v23
	v_lshrrev_b32_e32 v3, 16, v3
	s_wait_alu 0xfffd
	v_cndmask_b32_e64 v24, 0, 1, vcc_lo
	v_cmp_ne_u32_e32 vcc_lo, 0, v0
	v_fmac_f16_e32 v14, v8, v7
	v_mul_f64_e32 v[10:11], s[24:25], v[10:11]
	v_mul_f16_e32 v8, v8, v21
	v_lshl_or_b32 v24, v24, 9, 0x7c00
	s_wait_alu 0xfffd
	v_cndmask_b32_e64 v0, 0, 1, vcc_lo
	v_cmp_ne_u32_e32 vcc_lo, v18, v15
	v_cvt_f32_f16_e32 v14, v14
	v_fma_f16 v7, v7, v19, -v8
	v_add_nc_u32_e32 v19, 0xfffffc10, v26
	v_and_or_b32 v0, 0xffe, v25, v0
	s_wait_alu 0xfffd
	v_cndmask_b32_e64 v18, 0, 1, vcc_lo
	v_cvt_f64_f32_e32 v[14:15], v14
	v_sub_nc_u32_e32 v25, 0x3f1, v26
	v_cmp_gt_i32_e32 vcc_lo, 1, v16
	v_or_b32_e32 v27, 0x1000, v0
	v_or_b32_e32 v18, v23, v18
	v_lshl_or_b32 v23, v16, 12, v2
	v_med3_i32 v25, v25, 0, 13
	v_cvt_f32_f16_e32 v7, v7
	s_wait_alu 0xfffd
	s_delay_alu instid0(VALU_DEP_3) | instskip(SKIP_2) | instid1(VALU_DEP_3)
	v_cndmask_b32_e32 v18, v23, v18, vcc_lo
	v_cmp_eq_u32_e32 vcc_lo, 0x40f, v61
	v_lshrrev_b32_e32 v23, 16, v33
	v_and_b32_e32 v28, 7, v18
	s_wait_alu 0xfffd
	v_cndmask_b32_e32 v22, v22, v24, vcc_lo
	v_lshrrev_b32_e32 v24, v25, v27
	v_lshrrev_b32_e32 v8, 2, v18
	v_cmp_lt_i32_e32 vcc_lo, 5, v28
	v_cmp_eq_u32_e64 s0, 3, v28
	s_delay_alu instid0(VALU_DEP_4) | instskip(SKIP_2) | instid1(VALU_DEP_4)
	v_lshlrev_b32_e32 v21, v25, v24
	v_and_or_b32 v17, 0x8000, v23, v22
	v_lshl_or_b32 v22, v19, 12, v0
	s_or_b32 vcc_lo, s0, vcc_lo
	s_delay_alu instid0(VALU_DEP_3)
	v_cmp_ne_u32_e64 s1, v21, v27
	s_wait_alu 0xfffe
	v_add_co_ci_u32_e32 v21, vcc_lo, 0, v8, vcc_lo
	v_cmp_ne_u32_e32 vcc_lo, 0, v2
	v_and_or_b32 v10, 0x1ff, v11, v10
	s_wait_alu 0xf1ff
	v_cndmask_b32_e64 v18, 0, 1, s1
	v_cvt_f64_f32_e32 v[7:8], v7
	v_bfe_u32 v23, v11, 20, 11
	s_wait_alu 0xfffd
	v_cndmask_b32_e64 v2, 0, 1, vcc_lo
	v_cmp_gt_i32_e32 vcc_lo, 1, v19
	v_or_b32_e32 v18, v24, v18
	v_mul_f64_e32 v[14:15], s[24:25], v[14:15]
	v_cmp_eq_u32_e64 s1, 0x40f, v16
	v_lshl_or_b32 v2, v2, 9, 0x7c00
	s_wait_alu 0xfffd
	v_dual_cndmask_b32 v18, v22, v18 :: v_dual_and_b32 v17, 0xffff, v17
	v_cmp_ne_u32_e32 vcc_lo, 0, v10
	v_lshrrev_b32_e32 v22, 8, v11
	s_delay_alu instid0(VALU_DEP_3)
	v_and_b32_e32 v24, 7, v18
	s_wait_alu 0xfffd
	v_cndmask_b32_e64 v10, 0, 1, vcc_lo
	v_cmp_gt_i32_e32 vcc_lo, 31, v16
	v_lshrrev_b32_e32 v16, 2, v18
	v_cmp_eq_u32_e64 s0, 3, v24
	s_delay_alu instid0(VALU_DEP_4)
	v_and_or_b32 v10, 0xffe, v22, v10
	v_sub_nc_u32_e32 v22, 0x3f1, v23
	s_wait_alu 0xfffd
	v_cndmask_b32_e32 v21, 0x7c00, v21, vcc_lo
	v_cmp_lt_i32_e32 vcc_lo, 5, v24
	v_add_nc_u32_e32 v23, 0xfffffc10, v23
	v_or_b32_e32 v24, 0x1000, v10
	v_med3_i32 v22, v22, 0, 13
	s_wait_alu 0xf1ff
	v_cndmask_b32_e64 v2, v21, v2, s1
	s_or_b32 vcc_lo, s0, vcc_lo
	s_wait_alu 0xfffe
	v_add_co_ci_u32_e32 v16, vcc_lo, 0, v16, vcc_lo
	v_lshrrev_b32_e32 v18, v22, v24
	v_cmp_gt_i32_e32 vcc_lo, 31, v19
	v_and_or_b32 v21, 0x8000, v3, v2
	s_delay_alu instid0(VALU_DEP_3)
	v_lshlrev_b32_e32 v2, v22, v18
	s_wait_alu 0xfffd
	v_cndmask_b32_e32 v16, 0x7c00, v16, vcc_lo
	v_cmp_ne_u32_e32 vcc_lo, 0, v0
	v_lshl_or_b32 v17, v21, 16, v17
	v_and_or_b32 v14, 0x1ff, v15, v14
	s_wait_alu 0xfffd
	v_cndmask_b32_e64 v0, 0, 1, vcc_lo
	v_cmp_ne_u32_e32 vcc_lo, v2, v24
	v_mul_f64_e32 v[2:3], s[24:25], v[7:8]
	v_lshrrev_b32_e32 v7, 16, v9
	s_wait_loadcnt 0x3
	v_lshrrev_b32_e32 v8, 16, v4
	v_lshl_or_b32 v0, v0, 9, 0x7c00
	s_wait_alu 0xfffd
	v_cndmask_b32_e64 v22, 0, 1, vcc_lo
	v_cmp_gt_i32_e32 vcc_lo, 1, v23
	v_bfe_u32 v25, v15, 20, 11
	v_mul_f16_e32 v24, v7, v8
	v_mul_f16_e32 v8, v9, v8
	v_or_b32_e32 v18, v18, v22
	v_lshl_or_b32 v22, v23, 12, v10
	s_delay_alu instid0(VALU_DEP_4) | instskip(NEXT) | instid1(VALU_DEP_4)
	v_fmac_f16_e32 v24, v9, v4
	v_fma_f16 v4, v4, v7, -v8
	s_wait_alu 0xfffd
	s_delay_alu instid0(VALU_DEP_3)
	v_cndmask_b32_e32 v18, v22, v18, vcc_lo
	v_cmp_ne_u32_e32 vcc_lo, 0, v14
	v_lshrrev_b32_e32 v22, 8, v15
	v_cvt_f32_f16_e32 v4, v4
	v_lshrrev_b32_e32 v15, 16, v15
	s_wait_alu 0xfffd
	v_cndmask_b32_e64 v14, 0, 1, vcc_lo
	v_cmp_eq_u32_e32 vcc_lo, 0x40f, v19
	v_and_b32_e32 v19, 7, v18
	v_lshrrev_b32_e32 v18, 2, v18
	s_delay_alu instid0(VALU_DEP_4)
	v_and_or_b32 v14, 0xffe, v22, v14
	s_wait_alu 0xfffd
	v_cndmask_b32_e32 v16, v16, v0, vcc_lo
	v_cvt_f32_f16_e32 v0, v24
	v_lshrrev_b32_e32 v24, 16, v1
	v_sub_nc_u32_e32 v22, 0x3f1, v25
	v_cmp_lt_i32_e32 vcc_lo, 5, v19
	v_cmp_eq_u32_e64 s0, 3, v19
	v_cvt_f64_f32_e32 v[0:1], v0
	v_or_b32_e32 v26, 0x1000, v14
	v_med3_i32 v22, v22, 0, 13
	v_and_or_b32 v16, 0x8000, v24, v16
	s_or_b32 vcc_lo, s0, vcc_lo
	v_and_or_b32 v2, 0x1ff, v3, v2
	s_wait_alu 0xfffe
	v_add_co_ci_u32_e32 v18, vcc_lo, 0, v18, vcc_lo
	v_lshrrev_b32_e32 v19, v22, v26
	v_cmp_ne_u32_e32 vcc_lo, 0, v10
	v_bfe_u32 v24, v3, 20, 11
	v_lshrrev_b32_e32 v9, 8, v3
	v_and_b32_e32 v16, 0xffff, v16
	v_lshlrev_b32_e32 v21, v22, v19
	s_wait_alu 0xfffd
	v_cndmask_b32_e64 v10, 0, 1, vcc_lo
	v_cmp_gt_i32_e32 vcc_lo, 31, v23
	v_add_nc_u32_e32 v22, 0xfffffc10, v25
	v_sub_nc_u32_e32 v7, 0x3f1, v24
	s_delay_alu instid0(VALU_DEP_4)
	v_lshl_or_b32 v10, v10, 9, 0x7c00
	s_wait_alu 0xfffd
	v_cndmask_b32_e32 v18, 0x7c00, v18, vcc_lo
	v_cmp_ne_u32_e32 vcc_lo, v21, v26
	v_med3_i32 v25, v7, 0, 13
	v_cvt_f64_f32_e32 v[7:8], v4
	s_wait_alu 0xfffd
	v_cndmask_b32_e64 v21, 0, 1, vcc_lo
	v_cmp_ne_u32_e32 vcc_lo, 0, v2
	s_delay_alu instid0(VALU_DEP_2) | instskip(SKIP_4) | instid1(VALU_DEP_3)
	v_or_b32_e32 v19, v19, v21
	s_wait_alu 0xfffd
	v_cndmask_b32_e64 v2, 0, 1, vcc_lo
	v_lshl_or_b32 v21, v22, 12, v14
	v_cmp_gt_i32_e32 vcc_lo, 1, v22
	v_and_or_b32 v2, 0xffe, v9, v2
	v_add_nc_u32_e32 v9, 0x1400, v36
	s_wait_alu 0xfffd
	v_cndmask_b32_e32 v19, v21, v19, vcc_lo
	v_cmp_eq_u32_e32 vcc_lo, 0x40f, v23
	v_mul_f64_e32 v[0:1], s[24:25], v[0:1]
	v_or_b32_e32 v21, 0x1000, v2
	s_wait_alu 0xfffd
	v_dual_cndmask_b32 v4, v18, v10 :: v_dual_and_b32 v23, 7, v19
	ds_load_2addr_b32 v[9:10], v9 offset0:7 offset1:150
	v_lshrrev_b32_e32 v26, v25, v21
	v_lshrrev_b32_e32 v18, 16, v11
	v_add_co_u32 v11, vcc_lo, v12, s22
	s_wait_alu 0xfffd
	v_add_co_ci_u32_e32 v12, vcc_lo, s23, v13, vcc_lo
	v_lshlrev_b32_e32 v13, v25, v26
	v_cmp_lt_i32_e32 vcc_lo, 5, v23
	v_cmp_eq_u32_e64 s0, 3, v23
	v_and_or_b32 v4, 0x8000, v18, v4
	v_lshrrev_b32_e32 v18, 2, v19
	v_cmp_ne_u32_e64 s1, v13, v21
	v_add_nc_u32_e32 v19, 0xfffffc10, v24
	s_or_b32 vcc_lo, s0, vcc_lo
	s_wait_loadcnt 0x2
	v_lshrrev_b32_e32 v23, 16, v5
	s_wait_alu 0xfffe
	v_add_co_ci_u32_e32 v18, vcc_lo, 0, v18, vcc_lo
	v_cndmask_b32_e64 v13, 0, 1, s1
	v_cmp_ne_u32_e32 vcc_lo, 0, v14
	s_wait_dscnt 0x0
	v_lshrrev_b32_e32 v21, 16, v9
	v_lshl_or_b32 v24, v19, 12, v2
	v_mul_f64_e32 v[7:8], s[24:25], v[7:8]
	v_or_b32_e32 v13, v26, v13
	s_wait_alu 0xfffd
	v_cndmask_b32_e64 v14, 0, 1, vcc_lo
	v_mul_f16_e32 v25, v21, v23
	v_cmp_gt_i32_e32 vcc_lo, 1, v19
	v_lshl_or_b32 v16, v4, 16, v16
	s_delay_alu instid0(VALU_DEP_4) | instskip(NEXT) | instid1(VALU_DEP_4)
	v_lshl_or_b32 v14, v14, 9, 0x7c00
	v_fmac_f16_e32 v25, v9, v5
	s_wait_alu 0xfffd
	v_cndmask_b32_e32 v24, v24, v13, vcc_lo
	v_cmp_gt_i32_e32 vcc_lo, 31, v22
	v_and_or_b32 v0, 0x1ff, v1, v0
	v_bfe_u32 v26, v1, 20, 11
	v_cvt_f32_f16_e32 v25, v25
	v_mul_f16_e32 v9, v9, v23
	s_wait_alu 0xfffd
	v_cndmask_b32_e32 v13, 0x7c00, v18, vcc_lo
	v_cmp_eq_u32_e32 vcc_lo, 0x40f, v22
	v_and_b32_e32 v18, 7, v24
	v_cmp_ne_u32_e64 s0, 0, v0
	v_fma_f16 v5, v5, v21, -v9
	s_wait_alu 0xfffd
	v_cndmask_b32_e32 v22, v13, v14, vcc_lo
	v_cvt_f64_f32_e32 v[13:14], v25
	v_cmp_lt_i32_e32 vcc_lo, 5, v18
	s_wait_alu 0xf1ff
	v_cndmask_b32_e64 v0, 0, 1, s0
	v_cmp_eq_u32_e64 s0, 3, v18
	v_lshrrev_b32_e32 v25, 8, v1
	v_lshrrev_b32_e32 v18, 2, v24
	v_sub_nc_u32_e32 v24, 0x3f1, v26
	v_and_or_b32 v15, 0x8000, v15, v22
	s_or_b32 vcc_lo, s0, vcc_lo
	v_and_or_b32 v0, 0xffe, v25, v0
	s_wait_alu 0xfffe
	v_add_co_ci_u32_e32 v18, vcc_lo, 0, v18, vcc_lo
	v_cmp_ne_u32_e32 vcc_lo, 0, v2
	v_med3_i32 v24, v24, 0, 13
	v_or_b32_e32 v25, 0x1000, v0
	v_cvt_f32_f16_e32 v5, v5
	v_and_or_b32 v7, 0x1ff, v8, v7
	s_wait_alu 0xfffd
	v_cndmask_b32_e64 v2, 0, 1, vcc_lo
	v_cmp_gt_i32_e32 vcc_lo, 31, v19
	v_lshrrev_b32_e32 v4, v24, v25
	v_lshrrev_b32_e32 v9, 8, v8
	v_bfe_u32 v21, v8, 20, 11
	v_lshl_or_b32 v2, v2, 9, 0x7c00
	s_wait_alu 0xfffd
	v_cndmask_b32_e32 v18, 0x7c00, v18, vcc_lo
	v_cmp_eq_u32_e32 vcc_lo, 0x40f, v19
	v_lshlrev_b32_e32 v22, v24, v4
	v_lshrrev_b32_e32 v19, 16, v3
	v_and_b32_e32 v15, 0xffff, v15
	v_lshrrev_b32_e32 v1, 16, v1
	s_wait_alu 0xfffd
	v_cndmask_b32_e32 v18, v18, v2, vcc_lo
	v_add_co_u32 v2, vcc_lo, v11, s22
	s_wait_alu 0xfffd
	v_add_co_ci_u32_e32 v3, vcc_lo, s23, v12, vcc_lo
	v_cmp_ne_u32_e32 vcc_lo, v22, v25
	v_and_or_b32 v18, 0x8000, v19, v18
	v_add_nc_u32_e32 v22, 0xfffffc10, v26
	global_store_b32 v[11:12], v17, off
	global_store_b32 v[2:3], v16, off
	v_mul_f64_e32 v[13:14], s[24:25], v[13:14]
	s_wait_alu 0xfffd
	v_cndmask_b32_e64 v19, 0, 1, vcc_lo
	v_cmp_ne_u32_e32 vcc_lo, 0, v7
	v_lshrrev_b32_e32 v16, 16, v10
	s_wait_loadcnt 0x1
	v_lshrrev_b32_e32 v17, 16, v6
	v_lshl_or_b32 v15, v18, 16, v15
	v_or_b32_e32 v4, v4, v19
	s_wait_alu 0xfffd
	v_cndmask_b32_e64 v7, 0, 1, vcc_lo
	v_lshl_or_b32 v19, v22, 12, v0
	v_cmp_gt_i32_e32 vcc_lo, 1, v22
	v_add_nc_u32_e32 v18, 0xfffffc10, v21
	v_lshrrev_b32_e32 v8, 16, v8
	v_and_or_b32 v7, 0xffe, v9, v7
	v_sub_nc_u32_e32 v9, 0x3f1, v21
	s_wait_alu 0xfffd
	v_cndmask_b32_e32 v19, v19, v4, vcc_lo
	v_cvt_f64_f32_e32 v[4:5], v5
	v_add_co_u32 v2, vcc_lo, v2, s22
	v_or_b32_e32 v23, 0x1000, v7
	v_med3_i32 v9, v9, 0, 13
	v_and_b32_e32 v11, 7, v19
	s_wait_alu 0xfffd
	v_add_co_ci_u32_e32 v3, vcc_lo, s23, v3, vcc_lo
	s_delay_alu instid0(VALU_DEP_3) | instskip(NEXT) | instid1(VALU_DEP_3)
	v_lshrrev_b32_e32 v12, v9, v23
	v_cmp_lt_i32_e32 vcc_lo, 5, v11
	v_cmp_eq_u32_e64 s0, 3, v11
	v_lshrrev_b32_e32 v11, 2, v19
	v_mul_f16_e32 v19, v16, v17
	v_lshlrev_b32_e32 v9, v9, v12
	v_mul_f16_e32 v17, v10, v17
	s_or_b32 vcc_lo, s0, vcc_lo
	s_wait_alu 0xfffe
	v_add_co_ci_u32_e32 v21, vcc_lo, 0, v11, vcc_lo
	v_cmp_ne_u32_e64 s1, v9, v23
	v_cmp_ne_u32_e32 vcc_lo, 0, v0
	v_fmac_f16_e32 v19, v10, v6
	v_lshl_or_b32 v11, v18, 12, v7
	v_lshrrev_b32_e32 v23, 8, v14
	s_wait_alu 0xf1ff
	v_cndmask_b32_e64 v9, 0, 1, s1
	s_wait_alu 0xfffd
	v_cndmask_b32_e64 v0, 0, 1, vcc_lo
	v_cmp_gt_i32_e32 vcc_lo, 1, v18
	v_cmp_eq_u32_e64 s1, 0x40f, v22
	v_fma_f16 v6, v6, v16, -v17
	v_or_b32_e32 v9, v12, v9
	v_and_or_b32 v12, 0x1ff, v14, v13
	v_cvt_f32_f16_e32 v13, v19
	v_lshl_or_b32 v0, v0, 9, 0x7c00
	v_cvt_f32_f16_e32 v6, v6
	s_wait_alu 0xfffd
	v_cndmask_b32_e32 v9, v11, v9, vcc_lo
	v_cmp_ne_u32_e32 vcc_lo, 0, v12
	v_cvt_f64_f32_e32 v[11:12], v13
	v_bfe_u32 v13, v14, 20, 11
	v_mul_f64_e32 v[4:5], s[24:25], v[4:5]
	v_and_b32_e32 v24, 7, v9
	s_wait_alu 0xfffd
	v_cndmask_b32_e64 v19, 0, 1, vcc_lo
	v_cmp_gt_i32_e32 vcc_lo, 31, v22
	v_lshrrev_b32_e32 v9, 2, v9
	v_cmp_eq_u32_e64 s0, 3, v24
	s_delay_alu instid0(VALU_DEP_4)
	v_and_or_b32 v19, 0xffe, v23, v19
	v_sub_nc_u32_e32 v23, 0x3f1, v13
	s_wait_alu 0xfffd
	v_cndmask_b32_e32 v21, 0x7c00, v21, vcc_lo
	v_cmp_lt_i32_e32 vcc_lo, 5, v24
	v_add_nc_u32_e32 v13, 0xfffffc10, v13
	v_or_b32_e32 v24, 0x1000, v19
	v_med3_i32 v23, v23, 0, 13
	s_wait_alu 0xf1ff
	v_cndmask_b32_e64 v0, v21, v0, s1
	s_or_b32 vcc_lo, s0, vcc_lo
	s_wait_alu 0xfffe
	v_add_co_ci_u32_e32 v9, vcc_lo, 0, v9, vcc_lo
	v_lshrrev_b32_e32 v21, v23, v24
	v_cmp_ne_u32_e32 vcc_lo, 0, v7
	v_and_or_b32 v22, 0x8000, v1, v0
	s_delay_alu instid0(VALU_DEP_3) | instskip(SKIP_4) | instid1(VALU_DEP_3)
	v_lshlrev_b32_e32 v0, v23, v21
	s_wait_alu 0xfffd
	v_cndmask_b32_e64 v7, 0, 1, vcc_lo
	v_cmp_gt_i32_e32 vcc_lo, 31, v18
	v_and_b32_e32 v22, 0xffff, v22
	v_lshl_or_b32 v7, v7, 9, 0x7c00
	s_wait_alu 0xfffd
	v_cndmask_b32_e32 v1, 0x7c00, v9, vcc_lo
	v_cmp_ne_u32_e32 vcc_lo, v0, v24
	v_add_nc_u32_e32 v9, 0x1800, v36
	s_wait_alu 0xfffd
	v_cndmask_b32_e64 v23, 0, 1, vcc_lo
	v_cmp_eq_u32_e32 vcc_lo, 0x40f, v18
	v_and_or_b32 v4, 0x1ff, v5, v4
	v_bfe_u32 v16, v5, 20, 11
	s_delay_alu instid0(VALU_DEP_4)
	v_or_b32_e32 v18, v21, v23
	s_wait_alu 0xfffd
	v_cndmask_b32_e32 v7, v1, v7, vcc_lo
	ds_load_2addr_b32 v[0:1], v9 offset0:37 offset1:180
	v_mul_f64_e32 v[9:10], s[24:25], v[11:12]
	v_lshl_or_b32 v21, v13, 12, v19
	v_cmp_gt_i32_e32 vcc_lo, 1, v13
	v_lshrrev_b32_e32 v12, 8, v5
	v_and_or_b32 v8, 0x8000, v8, v7
	v_cvt_f64_f32_e32 v[6:7], v6
	s_wait_alu 0xfffd
	v_cndmask_b32_e32 v11, v21, v18, vcc_lo
	v_cmp_ne_u32_e32 vcc_lo, 0, v4
	s_wait_loadcnt 0x0
	v_lshrrev_b32_e32 v21, 16, v20
	s_delay_alu instid0(VALU_DEP_3) | instskip(SKIP_2) | instid1(VALU_DEP_2)
	v_and_b32_e32 v17, 7, v11
	s_wait_alu 0xfffd
	v_cndmask_b32_e64 v4, 0, 1, vcc_lo
	v_cmp_lt_i32_e32 vcc_lo, 5, v17
	s_delay_alu instid0(VALU_DEP_2)
	v_and_or_b32 v4, 0xffe, v12, v4
	v_sub_nc_u32_e32 v12, 0x3f1, v16
	s_wait_dscnt 0x0
	v_lshrrev_b32_e32 v18, 16, v0
	v_cmp_eq_u32_e64 s0, 3, v17
	v_lshl_or_b32 v17, v8, 16, v22
	v_lshrrev_b32_e32 v8, 2, v11
	v_or_b32_e32 v23, 0x1000, v4
	v_med3_i32 v12, v12, 0, 13
	v_mul_f16_e32 v24, v18, v21
	s_or_b32 vcc_lo, s0, vcc_lo
	v_add_nc_u32_e32 v16, 0xfffffc10, v16
	s_wait_alu 0xfffe
	v_add_co_ci_u32_e32 v8, vcc_lo, 0, v8, vcc_lo
	v_lshrrev_b32_e32 v11, v12, v23
	v_fmac_f16_e32 v24, v0, v20
	v_cmp_ne_u32_e32 vcc_lo, 0, v19
	v_mul_f16_e32 v0, v0, v21
	s_delay_alu instid0(VALU_DEP_4) | instskip(NEXT) | instid1(VALU_DEP_4)
	v_lshlrev_b32_e32 v12, v12, v11
	v_cvt_f32_f16_e32 v22, v24
	s_wait_alu 0xfffd
	v_cndmask_b32_e64 v19, 0, 1, vcc_lo
	v_cmp_gt_i32_e32 vcc_lo, 31, v13
	v_and_or_b32 v25, 0x1ff, v10, v9
	v_fma_f16 v0, v20, v18, -v0
	v_mul_f64_e32 v[6:7], s[24:25], v[6:7]
	s_wait_alu 0xfffd
	v_cndmask_b32_e32 v24, 0x7c00, v8, vcc_lo
	v_cvt_f64_f32_e32 v[8:9], v22
	v_cmp_ne_u32_e32 vcc_lo, v12, v23
	v_lshrrev_b32_e32 v22, 8, v10
	v_bfe_u32 v23, v10, 20, 11
	v_lshl_or_b32 v19, v19, 9, 0x7c00
	v_cvt_f32_f16_e32 v0, v0
	s_wait_alu 0xfffd
	v_cndmask_b32_e64 v12, 0, 1, vcc_lo
	v_cmp_ne_u32_e32 vcc_lo, 0, v25
	v_sub_nc_u32_e32 v20, 0x3f1, v23
	v_lshrrev_b32_e32 v10, 16, v10
	s_delay_alu instid0(VALU_DEP_4)
	v_or_b32_e32 v11, v11, v12
	s_wait_alu 0xfffd
	v_cndmask_b32_e64 v21, 0, 1, vcc_lo
	v_lshl_or_b32 v12, v16, 12, v4
	v_cmp_gt_i32_e32 vcc_lo, 1, v16
	v_med3_i32 v20, v20, 0, 13
	s_delay_alu instid0(VALU_DEP_4)
	v_and_or_b32 v18, 0xffe, v22, v21
	s_wait_alu 0xfffd
	v_cndmask_b32_e32 v21, v12, v11, vcc_lo
	v_cmp_eq_u32_e32 vcc_lo, 0x40f, v13
	v_cvt_f64_f32_e32 v[11:12], v0
	v_or_b32_e32 v22, 0x1000, v18
	s_wait_alu 0xfffd
	v_cndmask_b32_e32 v0, v24, v19, vcc_lo
	v_and_b32_e32 v24, 7, v21
	v_lshrrev_b32_e32 v19, 16, v14
	v_add_co_u32 v13, vcc_lo, v2, s22
	v_lshrrev_b32_e32 v25, v20, v22
	s_wait_alu 0xfffd
	v_add_co_ci_u32_e32 v14, vcc_lo, s23, v3, vcc_lo
	v_cmp_lt_i32_e32 vcc_lo, 5, v24
	v_cmp_eq_u32_e64 s0, 3, v24
	v_and_or_b32 v0, 0x8000, v19, v0
	v_lshrrev_b32_e32 v19, 2, v21
	v_lshlrev_b32_e32 v20, v20, v25
	v_mul_f64_e32 v[8:9], s[24:25], v[8:9]
	s_or_b32 vcc_lo, s0, vcc_lo
	v_add_nc_u32_e32 v21, 0xfffffc10, v23
	s_wait_alu 0xfffe
	v_add_co_ci_u32_e32 v19, vcc_lo, 0, v19, vcc_lo
	v_cmp_ne_u32_e64 s1, v20, v22
	v_cmp_ne_u32_e32 vcc_lo, 0, v4
	v_lshl_or_b32 v22, v21, 12, v18
	v_and_or_b32 v6, 0x1ff, v7, v6
	v_and_b32_e32 v0, 0xffff, v0
	s_wait_alu 0xf1ff
	v_cndmask_b32_e64 v20, 0, 1, s1
	s_wait_alu 0xfffd
	v_cndmask_b32_e64 v4, 0, 1, vcc_lo
	v_cmp_gt_i32_e32 vcc_lo, 31, v16
	v_lshrrev_b32_e32 v23, 8, v7
	v_or_b32_e32 v20, v25, v20
	s_delay_alu instid0(VALU_DEP_4)
	v_lshl_or_b32 v4, v4, 9, 0x7c00
	s_wait_alu 0xfffd
	v_cndmask_b32_e32 v19, 0x7c00, v19, vcc_lo
	v_cmp_gt_i32_e32 vcc_lo, 1, v21
	s_wait_alu 0xfffd
	v_cndmask_b32_e32 v20, v22, v20, vcc_lo
	v_cmp_eq_u32_e32 vcc_lo, 0x40f, v16
	s_delay_alu instid0(VALU_DEP_2)
	v_and_b32_e32 v22, 7, v20
	s_wait_alu 0xfffd
	v_cndmask_b32_e32 v16, v19, v4, vcc_lo
	v_lshrrev_b32_e32 v19, 16, v5
	v_cmp_ne_u32_e32 vcc_lo, 0, v6
	v_mul_f64_e32 v[4:5], s[24:25], v[11:12]
	v_bfe_u32 v11, v7, 20, 11
	v_cmp_eq_u32_e64 s0, 3, v22
	v_and_or_b32 v12, 0x8000, v19, v16
	s_wait_alu 0xfffd
	v_cndmask_b32_e64 v6, 0, 1, vcc_lo
	v_cmp_lt_i32_e32 vcc_lo, 5, v22
	v_sub_nc_u32_e32 v16, 0x3f1, v11
	v_and_or_b32 v8, 0x1ff, v9, v8
	v_lshl_or_b32 v0, v12, 16, v0
	v_lshrrev_b32_e32 v12, 2, v20
	v_and_or_b32 v6, 0xffe, v23, v6
	s_or_b32 vcc_lo, s0, vcc_lo
	v_med3_i32 v16, v16, 0, 13
	v_lshrrev_b32_e32 v22, 8, v9
	s_wait_alu 0xfffe
	v_add_co_ci_u32_e32 v12, vcc_lo, 0, v12, vcc_lo
	v_or_b32_e32 v19, 0x1000, v6
	v_cmp_ne_u32_e32 vcc_lo, 0, v18
	v_bfe_u32 v23, v9, 20, 11
	v_add_nc_u32_e32 v11, 0xfffffc10, v11
	v_lshrrev_b32_e32 v7, 16, v7
	v_lshrrev_b32_e32 v20, v16, v19
	s_wait_alu 0xfffd
	v_cndmask_b32_e64 v18, 0, 1, vcc_lo
	v_cmp_gt_i32_e32 vcc_lo, 31, v21
	v_lshrrev_b32_e32 v9, 16, v9
	v_lshlrev_b32_e32 v16, v16, v20
	s_delay_alu instid0(VALU_DEP_4)
	v_lshl_or_b32 v18, v18, 9, 0x7c00
	s_wait_alu 0xfffd
	v_cndmask_b32_e32 v12, 0x7c00, v12, vcc_lo
	v_cmp_ne_u32_e32 vcc_lo, 0, v8
	s_wait_alu 0xfffd
	v_cndmask_b32_e64 v8, 0, 1, vcc_lo
	v_cmp_ne_u32_e32 vcc_lo, v16, v19
	v_sub_nc_u32_e32 v19, 0x3f1, v23
	v_and_or_b32 v4, 0x1ff, v5, v4
	s_delay_alu instid0(VALU_DEP_4)
	v_and_or_b32 v8, 0xffe, v22, v8
	s_wait_alu 0xfffd
	v_cndmask_b32_e64 v16, 0, 1, vcc_lo
	v_cmp_eq_u32_e32 vcc_lo, 0x40f, v21
	v_med3_i32 v19, v19, 0, 13
	v_lshrrev_b32_e32 v21, 8, v5
	v_bfe_u32 v22, v5, 20, 11
	v_or_b32_e32 v16, v20, v16
	s_wait_alu 0xfffd
	v_cndmask_b32_e32 v12, v12, v18, vcc_lo
	v_lshl_or_b32 v18, v11, 12, v6
	v_or_b32_e32 v20, 0x1000, v8
	v_cmp_gt_i32_e32 vcc_lo, 1, v11
	s_delay_alu instid0(VALU_DEP_4)
	v_and_or_b32 v10, 0x8000, v10, v12
	v_sub_nc_u32_e32 v12, 0x3f1, v22
	s_wait_alu 0xfffd
	v_cndmask_b32_e32 v16, v18, v16, vcc_lo
	v_lshrrev_b32_e32 v18, v19, v20
	v_cmp_ne_u32_e32 vcc_lo, 0, v4
	v_med3_i32 v12, v12, 0, 13
	s_delay_alu instid0(VALU_DEP_4) | instskip(NEXT) | instid1(VALU_DEP_4)
	v_and_b32_e32 v24, 7, v16
	v_lshlrev_b32_e32 v19, v19, v18
	s_wait_alu 0xfffd
	v_cndmask_b32_e64 v4, 0, 1, vcc_lo
	v_lshrrev_b32_e32 v16, 2, v16
	v_cmp_lt_i32_e32 vcc_lo, 5, v24
	v_cmp_ne_u32_e64 s0, v19, v20
	s_delay_alu instid0(VALU_DEP_4) | instskip(SKIP_2) | instid1(VALU_DEP_3)
	v_and_or_b32 v4, 0xffe, v21, v4
	v_add_nc_u32_e32 v21, 0xfffffc10, v23
	s_wait_alu 0xf1ff
	v_cndmask_b32_e64 v19, 0, 1, s0
	v_cmp_eq_u32_e64 s0, 3, v24
	v_or_b32_e32 v20, 0x1000, v4
	v_lshl_or_b32 v23, v21, 12, v8
	s_delay_alu instid0(VALU_DEP_4) | instskip(NEXT) | instid1(VALU_DEP_4)
	v_or_b32_e32 v18, v18, v19
	s_or_b32 vcc_lo, s0, vcc_lo
	s_delay_alu instid0(VALU_DEP_3) | instskip(SKIP_3) | instid1(VALU_DEP_3)
	v_lshrrev_b32_e32 v19, v12, v20
	s_wait_alu 0xfffe
	v_add_co_ci_u32_e32 v16, vcc_lo, 0, v16, vcc_lo
	v_cmp_gt_i32_e32 vcc_lo, 1, v21
	v_lshlrev_b32_e32 v12, v12, v19
	s_wait_alu 0xfffd
	v_cndmask_b32_e32 v18, v23, v18, vcc_lo
	v_cmp_ne_u32_e32 vcc_lo, 0, v6
	s_wait_alu 0xfffd
	v_cndmask_b32_e64 v6, 0, 1, vcc_lo
	v_cmp_ne_u32_e32 vcc_lo, v12, v20
	v_add_nc_u32_e32 v20, 0xfffffc10, v22
	v_and_b32_e32 v22, 7, v18
	s_delay_alu instid0(VALU_DEP_4)
	v_lshl_or_b32 v6, v6, 9, 0x7c00
	s_wait_alu 0xfffd
	v_cndmask_b32_e64 v12, 0, 1, vcc_lo
	v_cmp_gt_i32_e32 vcc_lo, 31, v11
	v_cmp_gt_i32_e64 s1, 1, v20
	v_cmp_eq_u32_e64 s0, 3, v22
	s_delay_alu instid0(VALU_DEP_4)
	v_or_b32_e32 v12, v19, v12
	v_lshl_or_b32 v19, v20, 12, v4
	s_wait_alu 0xfffd
	v_cndmask_b32_e32 v16, 0x7c00, v16, vcc_lo
	v_cmp_lt_i32_e32 vcc_lo, 5, v22
	s_wait_alu 0xf1ff
	v_cndmask_b32_e64 v12, v19, v12, s1
	v_cmp_eq_u32_e64 s1, 0x40f, v11
	v_lshrrev_b32_e32 v11, 2, v18
	s_or_b32 vcc_lo, s0, vcc_lo
	s_delay_alu instid0(VALU_DEP_2) | instskip(SKIP_1) | instid1(VALU_DEP_2)
	v_cndmask_b32_e64 v6, v16, v6, s1
	s_wait_alu 0xfffe
	v_add_co_ci_u32_e32 v11, vcc_lo, 0, v11, vcc_lo
	v_and_b32_e32 v16, 7, v12
	v_cmp_ne_u32_e32 vcc_lo, 0, v8
	v_lshrrev_b32_e32 v12, 2, v12
	v_cmp_gt_i32_e64 s1, 31, v21
	v_and_or_b32 v6, 0x8000, v7, v6
	v_cmp_eq_u32_e64 s0, 3, v16
	s_wait_alu 0xfffd
	v_cndmask_b32_e64 v8, 0, 1, vcc_lo
	v_cmp_lt_i32_e32 vcc_lo, 5, v16
	s_wait_alu 0xf1ff
	v_cndmask_b32_e64 v11, 0x7c00, v11, s1
	v_and_b32_e32 v7, 0xffff, v10
	v_lshrrev_b32_e32 v10, 16, v5
	v_lshl_or_b32 v8, v8, 9, 0x7c00
	s_or_b32 vcc_lo, s0, vcc_lo
	s_wait_alu 0xfffe
	v_add_co_ci_u32_e32 v12, vcc_lo, 0, v12, vcc_lo
	v_cmp_ne_u32_e32 vcc_lo, 0, v4
	s_wait_alu 0xfffd
	v_cndmask_b32_e64 v4, 0, 1, vcc_lo
	v_cmp_eq_u32_e32 vcc_lo, 0x40f, v21
	s_delay_alu instid0(VALU_DEP_2) | instskip(SKIP_3) | instid1(VALU_DEP_2)
	v_lshl_or_b32 v4, v4, 9, 0x7c00
	s_wait_alu 0xfffd
	v_cndmask_b32_e32 v8, v11, v8, vcc_lo
	v_cmp_gt_i32_e32 vcc_lo, 31, v20
	v_and_or_b32 v8, 0x8000, v9, v8
	s_wait_alu 0xfffd
	v_cndmask_b32_e32 v11, 0x7c00, v12, vcc_lo
	v_cmp_eq_u32_e32 vcc_lo, 0x40f, v20
	s_delay_alu instid0(VALU_DEP_3) | instskip(SKIP_1) | instid1(VALU_DEP_3)
	v_and_b32_e32 v8, 0xffff, v8
	s_wait_alu 0xfffd
	v_cndmask_b32_e32 v9, v11, v4, vcc_lo
	v_add_co_u32 v4, vcc_lo, v13, s22
	s_wait_alu 0xfffd
	v_add_co_ci_u32_e32 v5, vcc_lo, s23, v14, vcc_lo
	v_lshl_or_b32 v11, v6, 16, v7
	v_and_or_b32 v9, 0x8000, v10, v9
	v_add_co_u32 v6, vcc_lo, v4, s22
	s_wait_alu 0xfffd
	v_add_co_ci_u32_e32 v7, vcc_lo, s23, v5, vcc_lo
	s_delay_alu instid0(VALU_DEP_3) | instskip(NEXT) | instid1(VALU_DEP_3)
	v_lshl_or_b32 v10, v9, 16, v8
	v_add_co_u32 v8, vcc_lo, v6, s22
	s_wait_alu 0xfffd
	s_delay_alu instid0(VALU_DEP_3)
	v_add_co_ci_u32_e32 v9, vcc_lo, s23, v7, vcc_lo
	global_store_b32 v[2:3], v15, off
	global_store_b32 v[13:14], v17, off
	;; [unrolled: 1-line block ×5, first 2 shown]
	global_load_b32 v0, v36, s[20:21] offset:6864
	v_lshrrev_b32_e32 v2, 16, v1
	s_wait_loadcnt 0x0
	v_lshrrev_b32_e32 v3, 16, v0
	s_delay_alu instid0(VALU_DEP_1) | instskip(SKIP_1) | instid1(VALU_DEP_2)
	v_mul_f16_e32 v4, v2, v3
	v_mul_f16_e32 v3, v1, v3
	v_fmac_f16_e32 v4, v1, v0
	s_delay_alu instid0(VALU_DEP_2) | instskip(NEXT) | instid1(VALU_DEP_2)
	v_fma_f16 v0, v0, v2, -v3
	v_cvt_f32_f16_e32 v1, v4
	s_delay_alu instid0(VALU_DEP_2) | instskip(NEXT) | instid1(VALU_DEP_2)
	v_cvt_f32_f16_e32 v2, v0
	v_cvt_f64_f32_e32 v[0:1], v1
	s_delay_alu instid0(VALU_DEP_2) | instskip(NEXT) | instid1(VALU_DEP_2)
	v_cvt_f64_f32_e32 v[2:3], v2
	v_mul_f64_e32 v[0:1], s[24:25], v[0:1]
	s_delay_alu instid0(VALU_DEP_2) | instskip(NEXT) | instid1(VALU_DEP_2)
	v_mul_f64_e32 v[2:3], s[24:25], v[2:3]
	v_and_or_b32 v0, 0x1ff, v1, v0
	s_delay_alu instid0(VALU_DEP_2)
	v_and_or_b32 v2, 0x1ff, v3, v2
	v_lshrrev_b32_e32 v4, 8, v1
	v_bfe_u32 v5, v1, 20, 11
	v_lshrrev_b32_e32 v6, 8, v3
	v_cmp_ne_u32_e32 vcc_lo, 0, v0
	v_bfe_u32 v7, v3, 20, 11
	v_lshrrev_b32_e32 v1, 16, v1
	v_lshrrev_b32_e32 v3, 16, v3
	s_wait_alu 0xfffd
	v_cndmask_b32_e64 v0, 0, 1, vcc_lo
	v_cmp_ne_u32_e32 vcc_lo, 0, v2
	s_delay_alu instid0(VALU_DEP_2)
	v_and_or_b32 v0, 0xffe, v4, v0
	s_wait_alu 0xfffd
	v_cndmask_b32_e64 v2, 0, 1, vcc_lo
	v_sub_nc_u32_e32 v4, 0x3f1, v5
	v_add_nc_u32_e32 v5, 0xfffffc10, v5
	v_or_b32_e32 v10, 0x1000, v0
	s_delay_alu instid0(VALU_DEP_4) | instskip(SKIP_3) | instid1(VALU_DEP_4)
	v_and_or_b32 v2, 0xffe, v6, v2
	v_sub_nc_u32_e32 v6, 0x3f1, v7
	v_med3_i32 v4, v4, 0, 13
	v_add_nc_u32_e32 v7, 0xfffffc10, v7
	v_or_b32_e32 v11, 0x1000, v2
	s_delay_alu instid0(VALU_DEP_4) | instskip(NEXT) | instid1(VALU_DEP_4)
	v_med3_i32 v6, v6, 0, 13
	v_lshrrev_b32_e32 v12, v4, v10
	s_delay_alu instid0(VALU_DEP_2) | instskip(NEXT) | instid1(VALU_DEP_2)
	v_lshrrev_b32_e32 v13, v6, v11
	v_lshlrev_b32_e32 v4, v4, v12
	s_delay_alu instid0(VALU_DEP_2) | instskip(NEXT) | instid1(VALU_DEP_2)
	v_lshlrev_b32_e32 v6, v6, v13
	v_cmp_ne_u32_e32 vcc_lo, v4, v10
	v_lshl_or_b32 v10, v5, 12, v0
	s_wait_alu 0xfffd
	v_cndmask_b32_e64 v4, 0, 1, vcc_lo
	v_cmp_ne_u32_e32 vcc_lo, v6, v11
	v_lshl_or_b32 v11, v7, 12, v2
	s_delay_alu instid0(VALU_DEP_3) | instskip(SKIP_3) | instid1(VALU_DEP_2)
	v_or_b32_e32 v4, v12, v4
	s_wait_alu 0xfffd
	v_cndmask_b32_e64 v6, 0, 1, vcc_lo
	v_cmp_gt_i32_e32 vcc_lo, 1, v5
	v_or_b32_e32 v6, v13, v6
	s_wait_alu 0xfffd
	v_cndmask_b32_e32 v4, v10, v4, vcc_lo
	v_cmp_gt_i32_e32 vcc_lo, 1, v7
	s_delay_alu instid0(VALU_DEP_2) | instskip(SKIP_3) | instid1(VALU_DEP_3)
	v_and_b32_e32 v10, 7, v4
	s_wait_alu 0xfffd
	v_cndmask_b32_e32 v6, v11, v6, vcc_lo
	v_lshrrev_b32_e32 v4, 2, v4
	v_cmp_lt_i32_e32 vcc_lo, 5, v10
	s_delay_alu instid0(VALU_DEP_3) | instskip(SKIP_2) | instid1(VALU_DEP_3)
	v_and_b32_e32 v11, 7, v6
	v_cmp_eq_u32_e64 s0, 3, v10
	v_lshrrev_b32_e32 v6, 2, v6
	v_cmp_lt_i32_e64 s1, 5, v11
	s_delay_alu instid0(VALU_DEP_3)
	s_or_b32 vcc_lo, s0, vcc_lo
	v_cmp_eq_u32_e64 s2, 3, v11
	s_wait_alu 0xfffe
	v_add_co_ci_u32_e32 v4, vcc_lo, 0, v4, vcc_lo
	v_cmp_ne_u32_e32 vcc_lo, 0, v0
	s_wait_alu 0xfffd
	v_cndmask_b32_e64 v0, 0, 1, vcc_lo
	s_or_b32 vcc_lo, s2, s1
	s_wait_alu 0xfffe
	v_add_co_ci_u32_e32 v6, vcc_lo, 0, v6, vcc_lo
	v_cmp_ne_u32_e32 vcc_lo, 0, v2
	v_lshl_or_b32 v0, v0, 9, 0x7c00
	s_wait_alu 0xfffd
	v_cndmask_b32_e64 v2, 0, 1, vcc_lo
	v_cmp_gt_i32_e32 vcc_lo, 31, v5
	s_delay_alu instid0(VALU_DEP_2)
	v_lshl_or_b32 v2, v2, 9, 0x7c00
	s_wait_alu 0xfffd
	v_cndmask_b32_e32 v4, 0x7c00, v4, vcc_lo
	v_cmp_gt_i32_e32 vcc_lo, 31, v7
	s_wait_alu 0xfffd
	v_cndmask_b32_e32 v6, 0x7c00, v6, vcc_lo
	v_cmp_eq_u32_e32 vcc_lo, 0x40f, v5
	s_wait_alu 0xfffd
	v_cndmask_b32_e32 v0, v4, v0, vcc_lo
	v_cmp_eq_u32_e32 vcc_lo, 0x40f, v7
	s_delay_alu instid0(VALU_DEP_2) | instskip(SKIP_2) | instid1(VALU_DEP_2)
	v_and_or_b32 v0, 0x8000, v1, v0
	s_wait_alu 0xfffd
	v_cndmask_b32_e32 v2, v6, v2, vcc_lo
	v_and_b32_e32 v0, 0xffff, v0
	s_delay_alu instid0(VALU_DEP_2) | instskip(NEXT) | instid1(VALU_DEP_1)
	v_and_or_b32 v1, 0x8000, v3, v2
	v_lshl_or_b32 v2, v1, 16, v0
	v_add_co_u32 v0, vcc_lo, v8, s22
	s_wait_alu 0xfffd
	v_add_co_ci_u32_e32 v1, vcc_lo, s23, v9, vcc_lo
	global_store_b32 v[0:1], v2, off
.LBB0_23:
	s_nop 0
	s_sendmsg sendmsg(MSG_DEALLOC_VGPRS)
	s_endpgm
	.section	.rodata,"a",@progbits
	.p2align	6, 0x0
	.amdhsa_kernel bluestein_single_fwd_len1859_dim1_half_op_CI_CI
		.amdhsa_group_segment_fixed_size 7436
		.amdhsa_private_segment_fixed_size 0
		.amdhsa_kernarg_size 104
		.amdhsa_user_sgpr_count 2
		.amdhsa_user_sgpr_dispatch_ptr 0
		.amdhsa_user_sgpr_queue_ptr 0
		.amdhsa_user_sgpr_kernarg_segment_ptr 1
		.amdhsa_user_sgpr_dispatch_id 0
		.amdhsa_user_sgpr_private_segment_size 0
		.amdhsa_wavefront_size32 1
		.amdhsa_uses_dynamic_stack 0
		.amdhsa_enable_private_segment 0
		.amdhsa_system_sgpr_workgroup_id_x 1
		.amdhsa_system_sgpr_workgroup_id_y 0
		.amdhsa_system_sgpr_workgroup_id_z 0
		.amdhsa_system_sgpr_workgroup_info 0
		.amdhsa_system_vgpr_workitem_id 0
		.amdhsa_next_free_vgpr 200
		.amdhsa_next_free_sgpr 26
		.amdhsa_reserve_vcc 1
		.amdhsa_float_round_mode_32 0
		.amdhsa_float_round_mode_16_64 0
		.amdhsa_float_denorm_mode_32 3
		.amdhsa_float_denorm_mode_16_64 3
		.amdhsa_fp16_overflow 0
		.amdhsa_workgroup_processor_mode 1
		.amdhsa_memory_ordered 1
		.amdhsa_forward_progress 0
		.amdhsa_round_robin_scheduling 0
		.amdhsa_exception_fp_ieee_invalid_op 0
		.amdhsa_exception_fp_denorm_src 0
		.amdhsa_exception_fp_ieee_div_zero 0
		.amdhsa_exception_fp_ieee_overflow 0
		.amdhsa_exception_fp_ieee_underflow 0
		.amdhsa_exception_fp_ieee_inexact 0
		.amdhsa_exception_int_div_zero 0
	.end_amdhsa_kernel
	.text
.Lfunc_end0:
	.size	bluestein_single_fwd_len1859_dim1_half_op_CI_CI, .Lfunc_end0-bluestein_single_fwd_len1859_dim1_half_op_CI_CI
                                        ; -- End function
	.section	.AMDGPU.csdata,"",@progbits
; Kernel info:
; codeLenInByte = 31124
; NumSgprs: 28
; NumVgprs: 200
; ScratchSize: 0
; MemoryBound: 0
; FloatMode: 240
; IeeeMode: 1
; LDSByteSize: 7436 bytes/workgroup (compile time only)
; SGPRBlocks: 3
; VGPRBlocks: 24
; NumSGPRsForWavesPerEU: 28
; NumVGPRsForWavesPerEU: 200
; Occupancy: 7
; WaveLimiterHint : 1
; COMPUTE_PGM_RSRC2:SCRATCH_EN: 0
; COMPUTE_PGM_RSRC2:USER_SGPR: 2
; COMPUTE_PGM_RSRC2:TRAP_HANDLER: 0
; COMPUTE_PGM_RSRC2:TGID_X_EN: 1
; COMPUTE_PGM_RSRC2:TGID_Y_EN: 0
; COMPUTE_PGM_RSRC2:TGID_Z_EN: 0
; COMPUTE_PGM_RSRC2:TIDIG_COMP_CNT: 0
	.text
	.p2alignl 7, 3214868480
	.fill 96, 4, 3214868480
	.type	__hip_cuid_2729c849a214d56f,@object ; @__hip_cuid_2729c849a214d56f
	.section	.bss,"aw",@nobits
	.globl	__hip_cuid_2729c849a214d56f
__hip_cuid_2729c849a214d56f:
	.byte	0                               ; 0x0
	.size	__hip_cuid_2729c849a214d56f, 1

	.ident	"AMD clang version 19.0.0git (https://github.com/RadeonOpenCompute/llvm-project roc-6.4.0 25133 c7fe45cf4b819c5991fe208aaa96edf142730f1d)"
	.section	".note.GNU-stack","",@progbits
	.addrsig
	.addrsig_sym __hip_cuid_2729c849a214d56f
	.amdgpu_metadata
---
amdhsa.kernels:
  - .args:
      - .actual_access:  read_only
        .address_space:  global
        .offset:         0
        .size:           8
        .value_kind:     global_buffer
      - .actual_access:  read_only
        .address_space:  global
        .offset:         8
        .size:           8
        .value_kind:     global_buffer
      - .actual_access:  read_only
        .address_space:  global
        .offset:         16
        .size:           8
        .value_kind:     global_buffer
      - .actual_access:  read_only
        .address_space:  global
        .offset:         24
        .size:           8
        .value_kind:     global_buffer
      - .actual_access:  read_only
        .address_space:  global
        .offset:         32
        .size:           8
        .value_kind:     global_buffer
      - .offset:         40
        .size:           8
        .value_kind:     by_value
      - .address_space:  global
        .offset:         48
        .size:           8
        .value_kind:     global_buffer
      - .address_space:  global
        .offset:         56
        .size:           8
        .value_kind:     global_buffer
      - .address_space:  global
        .offset:         64
        .size:           8
        .value_kind:     global_buffer
      - .address_space:  global
        .offset:         72
        .size:           8
        .value_kind:     global_buffer
      - .offset:         80
        .size:           4
        .value_kind:     by_value
      - .address_space:  global
        .offset:         88
        .size:           8
        .value_kind:     global_buffer
      - .address_space:  global
        .offset:         96
        .size:           8
        .value_kind:     global_buffer
    .group_segment_fixed_size: 7436
    .kernarg_segment_align: 8
    .kernarg_segment_size: 104
    .language:       OpenCL C
    .language_version:
      - 2
      - 0
    .max_flat_workgroup_size: 169
    .name:           bluestein_single_fwd_len1859_dim1_half_op_CI_CI
    .private_segment_fixed_size: 0
    .sgpr_count:     28
    .sgpr_spill_count: 0
    .symbol:         bluestein_single_fwd_len1859_dim1_half_op_CI_CI.kd
    .uniform_work_group_size: 1
    .uses_dynamic_stack: false
    .vgpr_count:     200
    .vgpr_spill_count: 0
    .wavefront_size: 32
    .workgroup_processor_mode: 1
amdhsa.target:   amdgcn-amd-amdhsa--gfx1201
amdhsa.version:
  - 1
  - 2
...

	.end_amdgpu_metadata
